;; amdgpu-corpus repo=ROCm/rocSPARSE kind=compiled arch=gfx1250 opt=O3
	.amdgcn_target "amdgcn-amd-amdhsa--gfx1250"
	.amdhsa_code_object_version 6
	.section	.text._ZN9rocsparseL15bsrilu0_generalILj128ELj64ELb1EfEEv20rocsparse_direction_iPKiS3_PT2_S3_iPiS3_S6_21rocsparse_index_base_imNS_24const_host_device_scalarIfEENS8_IdEENS8_IS4_EEb,"axG",@progbits,_ZN9rocsparseL15bsrilu0_generalILj128ELj64ELb1EfEEv20rocsparse_direction_iPKiS3_PT2_S3_iPiS3_S6_21rocsparse_index_base_imNS_24const_host_device_scalarIfEENS8_IdEENS8_IS4_EEb,comdat
	.globl	_ZN9rocsparseL15bsrilu0_generalILj128ELj64ELb1EfEEv20rocsparse_direction_iPKiS3_PT2_S3_iPiS3_S6_21rocsparse_index_base_imNS_24const_host_device_scalarIfEENS8_IdEENS8_IS4_EEb ; -- Begin function _ZN9rocsparseL15bsrilu0_generalILj128ELj64ELb1EfEEv20rocsparse_direction_iPKiS3_PT2_S3_iPiS3_S6_21rocsparse_index_base_imNS_24const_host_device_scalarIfEENS8_IdEENS8_IS4_EEb
	.p2align	8
	.type	_ZN9rocsparseL15bsrilu0_generalILj128ELj64ELb1EfEEv20rocsparse_direction_iPKiS3_PT2_S3_iPiS3_S6_21rocsparse_index_base_imNS_24const_host_device_scalarIfEENS8_IdEENS8_IS4_EEb,@function
_ZN9rocsparseL15bsrilu0_generalILj128ELj64ELb1EfEEv20rocsparse_direction_iPKiS3_PT2_S3_iPiS3_S6_21rocsparse_index_base_imNS_24const_host_device_scalarIfEENS8_IdEENS8_IS4_EEb: ; @_ZN9rocsparseL15bsrilu0_generalILj128ELj64ELb1EfEEv20rocsparse_direction_iPKiS3_PT2_S3_iPiS3_S6_21rocsparse_index_base_imNS_24const_host_device_scalarIfEENS8_IdEENS8_IS4_EEb
; %bb.0:
	s_clause 0x2
	s_load_b32 s2, s[0:1], 0x70
	s_load_b64 s[6:7], s[0:1], 0x48
	s_load_b256 s[16:23], s[0:1], 0x50
	s_wait_kmcnt 0x0
	s_bitcmp1_b32 s2, 0
	s_cselect_b32 s2, -1, 0
	s_cmp_eq_u32 s7, 0
	s_cselect_b32 s4, -1, 0
	s_cmp_lg_u32 s7, 0
	s_cselect_b32 s26, -1, 0
	s_or_b32 s7, s4, s2
	s_delay_alu instid0(SALU_CYCLE_1)
	s_xor_b32 s5, s7, -1
	s_and_b32 s2, s4, exec_lo
	s_cselect_b32 s3, 0, s21
	s_cselect_b32 s2, 0, s20
	;; [unrolled: 1-line block ×3, first 2 shown]
	s_and_b32 vcc_lo, exec_lo, s7
	s_cbranch_vccnz .LBB0_2
; %bb.1:
	s_load_b32 s28, s[18:19], 0x0
	s_mov_b64 s[2:3], s[20:21]
.LBB0_2:
	s_delay_alu instid0(SALU_CYCLE_1)
	v_mov_b64_e32 v[4:5], s[2:3]
	v_cndmask_b32_e64 v1, 0, 1, s5
	s_and_not1_b32 vcc_lo, exec_lo, s5
	s_cbranch_vccnz .LBB0_4
; %bb.3:
	v_mov_b32_e32 v2, 0
	flat_load_b64 v[4:5], v2, s[20:21]
.LBB0_4:
	s_delay_alu instid0(VALU_DEP_1)
	v_cmp_ne_u32_e32 vcc_lo, 1, v1
	s_and_b32 s2, s4, exec_lo
	s_cselect_b32 s27, 0, s22
	s_cbranch_vccnz .LBB0_6
; %bb.5:
	s_load_b32 s27, s[22:23], 0x0
.LBB0_6:
	s_load_b64 s[24:25], s[0:1], 0x0
	s_bfe_u32 s2, ttmp6, 0x4000c
	s_and_b32 s3, ttmp6, 15
	s_add_co_i32 s2, s2, 1
	s_getreg_b32 s4, hwreg(HW_REG_IB_STS2, 6, 4)
	s_mul_i32 s2, ttmp9, s2
	v_lshrrev_b32_e32 v1, 6, v0
	s_add_co_i32 s3, s3, s2
	s_cmp_eq_u32 s4, 0
	s_cselect_b32 s2, ttmp9, s3
	s_delay_alu instid0(SALU_CYCLE_1) | instskip(NEXT) | instid1(SALU_CYCLE_1)
	s_lshl_b32 s2, s2, 1
	v_and_or_b32 v1, 0x3fffffe, s2, v1
	s_mov_b32 s2, exec_lo
	s_wait_kmcnt 0x0
	s_delay_alu instid0(VALU_DEP_1)
	v_cmpx_gt_i32_e64 s25, v1
	s_cbranch_execz .LBB0_141
; %bb.7:
	s_clause 0x2
	s_load_b128 s[20:23], s[0:1], 0x30
	s_load_b64 s[18:19], s[0:1], 0x40
	s_load_b256 s[8:15], s[0:1], 0x8
	s_mov_b32 s2, -1
	s_mov_b32 s5, exec_lo
	s_wait_kmcnt 0x0
	global_load_b32 v2, v1, s[22:23] scale_offset
	s_wait_loadcnt 0x0
	v_dual_ashrrev_i32 v3, 31, v2 :: v_dual_bitop2_b32 v10, 63, v0 bitop3:0x40
	global_load_b32 v12, v2, s[14:15] scale_offset
	s_wait_loadcnt 0x0
	v_cmpx_ne_u32_e32 -1, v12
	s_cbranch_execz .LBB0_135
; %bb.8:
	v_lshl_add_u64 v[0:1], v[2:3], 2, s[8:9]
	s_load_b32 s7, s[0:1], 0x28
	s_mov_b32 s2, 0
	s_mov_b32 s22, exec_lo
	global_load_b64 v[0:1], v[0:1], off
	s_wait_loadcnt 0x0
	v_subrev_nc_u32_e32 v13, s6, v0
	v_subrev_nc_u32_e32 v11, s6, v1
	s_delay_alu instid0(VALU_DEP_2)
	v_cmpx_lt_i32_e64 v13, v12
	s_cbranch_execz .LBB0_76
; %bb.9:
	s_wait_kmcnt 0x0
	v_mad_u32 v1, s7, v13, v10
	v_add_nc_u32_e32 v0, v13, v10
	s_cmp_gt_i32 s7, 0
	v_cmp_gt_i32_e64 s0, s7, v10
	v_cmp_le_i32_e64 s1, s7, v10
	s_cselect_b32 s29, -1, 0
	v_cmp_lt_i32_e64 s2, v0, v11
	s_cmp_lg_u32 s24, 0
	s_mov_b32 s35, 0
	s_mul_i32 s23, s7, s7
	s_cselect_b32 s30, -1, 0
	v_mul_lo_u32 v14, s7, v1
	v_ashrrev_i32_e32 v1, 31, v0
	s_add_co_i32 s25, s25, 1
	s_add_co_i32 s31, s7, 1
	s_lshl_b32 s33, s7, 6
	s_add_co_i32 s34, s7, -1
	v_lshl_add_u64 v[6:7], v[0:1], 2, s[10:11]
	s_mov_b32 s36, 0
                                        ; implicit-def: $sgpr37
                                        ; implicit-def: $sgpr38
	s_delay_alu instid0(VALU_DEP_3)
	v_add_nc_u32_e32 v1, 1, v14
	s_branch .LBB0_12
.LBB0_10:                               ;   in Loop: Header=BB0_12 Depth=1
	s_or_b32 exec_lo, exec_lo, s4
	s_delay_alu instid0(SALU_CYCLE_1) | instskip(SKIP_1) | instid1(SALU_CYCLE_1)
	s_and_not1_b32 s4, s38, exec_lo
	s_and_b32 s35, s35, exec_lo
	s_or_b32 s38, s4, s35
.LBB0_11:                               ;   in Loop: Header=BB0_12 Depth=1
	s_or_b32 exec_lo, exec_lo, s39
	v_dual_add_nc_u32 v13, 1, v13 :: v_dual_add_nc_u32 v14, s23, v14
	s_xor_b32 s3, s3, -1
	v_add_nc_u32_e32 v1, s23, v1
	s_mov_b32 s35, s38
	s_delay_alu instid0(VALU_DEP_2) | instskip(SKIP_1) | instid1(SALU_CYCLE_1)
	v_cmp_ge_i32_e32 vcc_lo, v13, v12
	s_or_b32 s3, s3, vcc_lo
	s_and_b32 s3, exec_lo, s3
	s_delay_alu instid0(SALU_CYCLE_1) | instskip(SKIP_2) | instid1(SALU_CYCLE_1)
	s_or_b32 s36, s3, s36
	s_and_not1_b32 s3, s37, exec_lo
	s_and_b32 s4, s38, exec_lo
	s_or_b32 s37, s3, s4
	s_and_not1_b32 exec_lo, exec_lo, s36
	s_cbranch_execz .LBB0_75
.LBB0_12:                               ; =>This Loop Header: Depth=1
                                        ;     Child Loop BB0_16 Depth 2
                                        ;       Child Loop BB0_17 Depth 3
                                        ;     Child Loop BB0_22 Depth 2
                                        ;       Child Loop BB0_27 Depth 3
                                        ;         Child Loop BB0_36 Depth 4
                                        ;     Child Loop BB0_49 Depth 2
                                        ;       Child Loop BB0_54 Depth 3
                                        ;       Child Loop BB0_61 Depth 3
                                        ;         Child Loop BB0_63 Depth 4
                                        ;           Child Loop BB0_65 Depth 5
	global_load_b32 v8, v13, s[10:11] scale_offset
	s_or_b32 s38, s38, exec_lo
	s_wait_loadcnt 0x0
	v_subrev_nc_u32_e32 v8, s6, v8
	global_load_b32 v15, v8, s[14:15] scale_offset
	s_wait_loadcnt 0x0
	v_cmp_ne_u32_e64 s3, -1, v15
	s_wait_xcnt 0x0
	s_and_saveexec_b32 s39, s3
	s_cbranch_execz .LBB0_11
; %bb.13:                               ;   in Loop: Header=BB0_12 Depth=1
	v_ashrrev_i32_e32 v9, 31, v8
	s_mov_b32 s4, exec_lo
	s_delay_alu instid0(VALU_DEP_1) | instskip(SKIP_1) | instid1(VALU_DEP_1)
	v_lshlrev_b64_e32 v[8:9], 2, v[8:9]
	s_wait_dscnt 0x0
	v_add_nc_u64_e32 v[18:19], s[8:9], v[8:9]
	v_add_nc_u64_e32 v[8:9], s[20:21], v[8:9]
	global_load_b32 v16, v[18:19], off offset:4
	global_load_b32 v17, v[8:9], off scope:SCOPE_DEV
	s_wait_loadcnt 0x0
	s_wait_xcnt 0x0
	v_cmpx_eq_u32_e32 0, v17
	s_cbranch_execz .LBB0_18
; %bb.14:                               ;   in Loop: Header=BB0_12 Depth=1
	s_mov_b32 s40, 0
	s_mov_b32 s41, 0
	s_branch .LBB0_16
.LBB0_15:                               ;   in Loop: Header=BB0_16 Depth=2
	global_load_b32 v17, v[8:9], off scope:SCOPE_DEV
	s_cmp_lt_u32 s41, 0xf43
	s_cselect_b32 s42, -1, 0
	s_delay_alu instid0(SALU_CYCLE_1)
	s_cmp_lg_u32 s42, 0
	s_add_co_ci_u32 s41, s41, 0
	s_wait_loadcnt 0x0
	v_cmp_ne_u32_e32 vcc_lo, 0, v17
	s_or_b32 s40, vcc_lo, s40
	s_wait_xcnt 0x0
	s_and_not1_b32 exec_lo, exec_lo, s40
	s_cbranch_execz .LBB0_18
.LBB0_16:                               ;   Parent Loop BB0_12 Depth=1
                                        ; =>  This Loop Header: Depth=2
                                        ;       Child Loop BB0_17 Depth 3
	s_cmp_eq_u32 s41, 0
	s_mov_b32 s42, s41
	s_cbranch_scc1 .LBB0_15
.LBB0_17:                               ;   Parent Loop BB0_12 Depth=1
                                        ;     Parent Loop BB0_16 Depth=2
                                        ; =>    This Inner Loop Header: Depth=3
	s_add_co_i32 s42, s42, -1
	s_sleep 1
	s_cmp_eq_u32 s42, 0
	s_cbranch_scc0 .LBB0_17
	s_branch .LBB0_15
.LBB0_18:                               ;   in Loop: Header=BB0_12 Depth=1
	s_or_b32 exec_lo, exec_lo, s4
	v_mul_lo_u32 v8, v13, s7
	s_and_not1_b32 vcc_lo, exec_lo, s29
	s_wait_dscnt 0x0
	global_inv scope:SCOPE_DEV
	s_cbranch_vccnz .LBB0_45
; %bb.19:                               ;   in Loop: Header=BB0_12 Depth=1
	v_mul_lo_u32 v9, v15, s7
	v_mad_u32 v17, s23, v15, 1
	v_dual_mov_b32 v18, 0 :: v_dual_mov_b32 v19, v1
	s_mov_b32 s40, 0
	s_mov_b32 s41, s34
	s_branch .LBB0_22
.LBB0_20:                               ;   in Loop: Header=BB0_22 Depth=2
	s_or_b32 exec_lo, exec_lo, s43
	v_mov_b32_e32 v18, v20
.LBB0_21:                               ;   in Loop: Header=BB0_22 Depth=2
	s_or_b32 exec_lo, exec_lo, s42
	s_delay_alu instid0(VALU_DEP_1) | instskip(SKIP_3) | instid1(SALU_CYCLE_1)
	v_cmp_eq_u32_e32 vcc_lo, s7, v18
	v_dual_add_nc_u32 v17, s31, v17 :: v_dual_add_nc_u32 v19, 1, v19
	s_add_co_i32 s41, s41, -1
	s_or_b32 s40, vcc_lo, s40
	s_and_not1_b32 exec_lo, exec_lo, s40
	s_cbranch_execz .LBB0_44
.LBB0_22:                               ;   Parent Loop BB0_12 Depth=1
                                        ; =>  This Loop Header: Depth=2
                                        ;       Child Loop BB0_27 Depth 3
                                        ;         Child Loop BB0_36 Depth 4
	s_delay_alu instid0(VALU_DEP_1) | instskip(SKIP_1) | instid1(SALU_CYCLE_1)
	v_add_nc_u32_e32 v20, 1, v18
	s_and_saveexec_b32 s4, s1
	s_xor_b32 s4, exec_lo, s4
; %bb.23:                               ;   in Loop: Header=BB0_22 Depth=2
	v_add_nc_u32_e32 v18, 1, v18
                                        ; implicit-def: $vgpr20
; %bb.24:                               ;   in Loop: Header=BB0_22 Depth=2
	s_and_not1_saveexec_b32 s42, s4
	s_cbranch_execz .LBB0_21
; %bb.25:                               ;   in Loop: Header=BB0_22 Depth=2
	s_delay_alu instid0(VALU_DEP_1) | instskip(SKIP_2) | instid1(VALU_DEP_3)
	v_dual_add_nc_u32 v21, v18, v9 :: v_dual_add_nc_u32 v22, v18, v8
	v_cmp_gt_i32_e64 s4, s7, v20
	v_dual_mov_b32 v23, v19 :: v_dual_mov_b32 v24, v10
	v_mad_u32 v21, v21, s7, v18
	s_delay_alu instid0(VALU_DEP_4)
	v_mul_lo_u32 v22, v22, s7
	s_mov_b32 s43, 0
	global_load_b32 v21, v21, s[12:13] scale_offset
	s_branch .LBB0_27
.LBB0_26:                               ;   in Loop: Header=BB0_27 Depth=3
	s_wait_xcnt 0x0
	s_or_b32 exec_lo, exec_lo, s44
	v_dual_add_nc_u32 v24, 64, v24 :: v_dual_add_nc_u32 v23, s33, v23
	s_delay_alu instid0(VALU_DEP_1) | instskip(SKIP_1) | instid1(SALU_CYCLE_1)
	v_cmp_le_i32_e32 vcc_lo, s7, v24
	s_or_b32 s43, vcc_lo, s43
	s_and_not1_b32 exec_lo, exec_lo, s43
	s_cbranch_execz .LBB0_20
.LBB0_27:                               ;   Parent Loop BB0_12 Depth=1
                                        ;     Parent Loop BB0_22 Depth=2
                                        ; =>    This Loop Header: Depth=3
                                        ;         Child Loop BB0_36 Depth 4
	v_add_nc_u32_e32 v26, v24, v22
	s_and_b32 vcc_lo, exec_lo, s30
	s_cbranch_vccz .LBB0_42
; %bb.28:                               ;   in Loop: Header=BB0_27 Depth=3
	v_add_nc_u32_e32 v25, v24, v22
	v_add_nc_u32_e32 v28, v24, v8
	s_delay_alu instid0(VALU_DEP_1)
	v_mad_u32 v27, v28, s7, v18
	s_cbranch_execnz .LBB0_30
.LBB0_29:                               ;   in Loop: Header=BB0_27 Depth=3
	v_mad_u32 v25, v28, s7, v18
.LBB0_30:                               ;   in Loop: Header=BB0_27 Depth=3
	global_load_b32 v25, v25, s[12:13] scale_offset
	s_and_b32 vcc_lo, exec_lo, s30
	s_cbranch_vccz .LBB0_43
; %bb.31:                               ;   in Loop: Header=BB0_27 Depth=3
	s_cbranch_execnz .LBB0_33
.LBB0_32:                               ;   in Loop: Header=BB0_27 Depth=3
	v_mov_b32_e32 v26, v27
.LBB0_33:                               ;   in Loop: Header=BB0_27 Depth=3
	s_wait_loadcnt 0x0
	v_div_scale_f32 v27, null, v21, v21, v25
	s_delay_alu instid0(VALU_DEP_1) | instskip(SKIP_1) | instid1(TRANS32_DEP_1)
	v_rcp_f32_e32 v28, v27
	v_nop
	v_fma_f32 v29, -v27, v28, 1.0
	s_delay_alu instid0(VALU_DEP_1) | instskip(SKIP_1) | instid1(VALU_DEP_1)
	v_fmac_f32_e32 v28, v29, v28
	v_div_scale_f32 v29, vcc_lo, v25, v21, v25
	v_mul_f32_e32 v30, v29, v28
	s_delay_alu instid0(VALU_DEP_1) | instskip(NEXT) | instid1(VALU_DEP_1)
	v_fma_f32 v31, -v27, v30, v29
	v_fmac_f32_e32 v30, v31, v28
	s_delay_alu instid0(VALU_DEP_1) | instskip(NEXT) | instid1(VALU_DEP_1)
	v_fma_f32 v27, -v27, v30, v29
	v_div_fmas_f32 v27, v27, v28, v30
	s_wait_xcnt 0x0
	s_delay_alu instid0(VALU_DEP_1)
	v_div_fixup_f32 v25, v27, v21, v25
	global_store_b32 v26, v25, s[12:13] scale_offset
	s_wait_xcnt 0x0
	s_and_saveexec_b32 s44, s4
	s_cbranch_execz .LBB0_26
; %bb.34:                               ;   in Loop: Header=BB0_27 Depth=3
	v_dual_mov_b32 v26, v23 :: v_dual_mov_b32 v27, v17
	v_mov_b32_e32 v28, v20
	s_mov_b32 s45, s41
	s_branch .LBB0_36
.LBB0_35:                               ;   in Loop: Header=BB0_36 Depth=4
	s_wait_loadcnt 0x0
	s_wait_xcnt 0x1
	v_dual_fma_f32 v29, -v25, v29, v32 :: v_dual_add_nc_u32 v28, 1, v28
	v_dual_add_nc_u32 v27, 1, v27 :: v_dual_add_nc_u32 v26, 1, v26
	s_add_co_i32 s45, s45, -1
	global_store_b32 v31, v29, s[12:13] scale_offset
	s_cmp_eq_u32 s45, 0
	s_cbranch_scc1 .LBB0_26
.LBB0_36:                               ;   Parent Loop BB0_12 Depth=1
                                        ;     Parent Loop BB0_22 Depth=2
                                        ;       Parent Loop BB0_27 Depth=3
                                        ; =>      This Inner Loop Header: Depth=4
	s_wait_xcnt 0x0
	v_mov_b32_e32 v29, v27
	s_and_not1_b32 vcc_lo, exec_lo, s30
	s_cbranch_vccnz .LBB0_38
; %bb.37:                               ;   in Loop: Header=BB0_36 Depth=4
	v_add_nc_u32_e32 v29, v28, v9
	s_delay_alu instid0(VALU_DEP_1)
	v_mad_u32 v29, v29, s7, v18
.LBB0_38:                               ;   in Loop: Header=BB0_36 Depth=4
	global_load_b32 v29, v29, s[12:13] scale_offset
	v_dual_mov_b32 v32, v26 :: v_dual_add_nc_u32 v31, v28, v8
	s_and_not1_b32 vcc_lo, exec_lo, s30
	s_delay_alu instid0(VALU_DEP_1)
	v_mad_u32 v30, v31, s7, v24
	s_cbranch_vccnz .LBB0_40
; %bb.39:                               ;   in Loop: Header=BB0_36 Depth=4
	v_mad_u32 v32, v31, s7, v24
.LBB0_40:                               ;   in Loop: Header=BB0_36 Depth=4
	global_load_b32 v32, v32, s[12:13] scale_offset
	v_mov_b32_e32 v31, v26
	s_and_not1_b32 vcc_lo, exec_lo, s30
	s_cbranch_vccnz .LBB0_35
; %bb.41:                               ;   in Loop: Header=BB0_36 Depth=4
	v_mov_b32_e32 v31, v30
	s_branch .LBB0_35
.LBB0_42:                               ;   in Loop: Header=BB0_27 Depth=3
                                        ; implicit-def: $vgpr25
	v_add_nc_u32_e32 v28, v24, v8
	s_delay_alu instid0(VALU_DEP_1)
	v_mad_u32 v27, v28, s7, v18
	s_branch .LBB0_29
.LBB0_43:                               ;   in Loop: Header=BB0_27 Depth=3
                                        ; implicit-def: $vgpr26
	s_branch .LBB0_32
.LBB0_44:                               ;   in Loop: Header=BB0_12 Depth=1
	s_or_b32 exec_lo, exec_lo, s40
.LBB0_45:                               ;   in Loop: Header=BB0_12 Depth=1
	v_subrev_nc_u32_e32 v9, s6, v16
	v_add_nc_u32_e32 v15, 1, v15
	s_mov_b32 s4, exec_lo
	s_delay_alu instid0(VALU_DEP_1)
	v_cmpx_lt_i32_e64 v15, v9
	s_cbranch_execz .LBB0_10
; %bb.46:                               ;   in Loop: Header=BB0_12 Depth=1
	v_mul_lo_u32 v16, s23, v15
	s_mov_b32 s40, 0
	s_branch .LBB0_49
.LBB0_47:                               ;   in Loop: Header=BB0_49 Depth=2
	s_or_b32 exec_lo, exec_lo, s41
.LBB0_48:                               ;   in Loop: Header=BB0_49 Depth=2
	v_dual_add_nc_u32 v15, 1, v15 :: v_dual_add_nc_u32 v16, s23, v16
	s_delay_alu instid0(VALU_DEP_1) | instskip(SKIP_1) | instid1(SALU_CYCLE_1)
	v_cmp_ge_i32_e32 vcc_lo, v15, v9
	s_or_b32 s40, vcc_lo, s40
	s_and_not1_b32 exec_lo, exec_lo, s40
	s_cbranch_execz .LBB0_10
.LBB0_49:                               ;   Parent Loop BB0_12 Depth=1
                                        ; =>  This Loop Header: Depth=2
                                        ;       Child Loop BB0_54 Depth 3
                                        ;       Child Loop BB0_61 Depth 3
                                        ;         Child Loop BB0_63 Depth 4
                                        ;           Child Loop BB0_65 Depth 5
	global_load_b32 v17, v15, s[10:11] scale_offset
	s_wait_dscnt 0x0
	v_mov_b32_e32 v18, s25
	s_wait_xcnt 0x0
	s_and_saveexec_b32 s41, s2
	s_cbranch_execz .LBB0_51
; %bb.50:                               ;   in Loop: Header=BB0_49 Depth=2
	global_load_b32 v18, v[6:7], off
	s_wait_loadcnt 0x0
	v_subrev_nc_u32_e32 v18, s6, v18
.LBB0_51:                               ;   in Loop: Header=BB0_49 Depth=2
	s_wait_xcnt 0x0
	s_or_b32 exec_lo, exec_lo, s41
	s_wait_loadcnt 0x0
	v_subrev_nc_u32_e32 v17, s6, v17
	v_mov_b32_e32 v19, v0
	s_mov_b32 s41, exec_lo
	s_delay_alu instid0(VALU_DEP_2)
	v_cmpx_lt_i32_e64 v18, v17
	s_cbranch_execz .LBB0_57
; %bb.52:                               ;   in Loop: Header=BB0_49 Depth=2
	v_mov_b32_e32 v20, v0
	s_mov_b32 s42, 0
	s_branch .LBB0_54
.LBB0_53:                               ;   in Loop: Header=BB0_54 Depth=3
	s_wait_xcnt 0x0
	s_or_b32 exec_lo, exec_lo, s43
	s_delay_alu instid0(VALU_DEP_1) | instskip(SKIP_2) | instid1(SALU_CYCLE_1)
	v_cmp_ge_i32_e32 vcc_lo, v18, v17
	v_mov_b32_e32 v20, v19
	s_or_b32 s42, vcc_lo, s42
	s_and_not1_b32 exec_lo, exec_lo, s42
	s_cbranch_execz .LBB0_56
.LBB0_54:                               ;   Parent Loop BB0_12 Depth=1
                                        ;     Parent Loop BB0_49 Depth=2
                                        ; =>    This Inner Loop Header: Depth=3
	s_delay_alu instid0(VALU_DEP_1) | instskip(SKIP_1) | instid1(VALU_DEP_1)
	v_dual_mov_b32 v18, s25 :: v_dual_add_nc_u32 v19, 64, v20
	s_mov_b32 s43, exec_lo
	v_cmpx_lt_i32_e64 v19, v11
	s_cbranch_execz .LBB0_53
; %bb.55:                               ;   in Loop: Header=BB0_54 Depth=3
	global_load_b32 v18, v20, s[10:11] offset:256 scale_offset
	s_wait_loadcnt 0x0
	v_subrev_nc_u32_e32 v18, s6, v18
	s_branch .LBB0_53
.LBB0_56:                               ;   in Loop: Header=BB0_49 Depth=2
	s_or_b32 exec_lo, exec_lo, s42
.LBB0_57:                               ;   in Loop: Header=BB0_49 Depth=2
	s_delay_alu instid0(SALU_CYCLE_1)
	s_or_b32 exec_lo, exec_lo, s41
	v_cmp_eq_u32_e32 vcc_lo, v18, v17
	s_cbranch_vccz .LBB0_48
; %bb.58:                               ;   in Loop: Header=BB0_49 Depth=2
	s_ctz_i32_b32 s41, vcc_lo
	s_delay_alu instid0(SALU_CYCLE_1) | instskip(NEXT) | instid1(SALU_CYCLE_1)
	s_lshl_b32 s41, s41, 2
	v_mov_b32_e32 v17, s41
	ds_bpermute_b32 v18, v17, v19
	s_and_saveexec_b32 s41, s0
	s_cbranch_execz .LBB0_47
; %bb.59:                               ;   in Loop: Header=BB0_49 Depth=2
	v_mul_lo_u32 v17, v15, s7
	s_wait_dscnt 0x0
	v_mul_lo_u32 v18, v18, s7
	v_dual_mov_b32 v19, v14 :: v_dual_mov_b32 v20, v10
	s_mov_b32 s42, 0
	s_branch .LBB0_61
.LBB0_60:                               ;   in Loop: Header=BB0_61 Depth=3
	v_dual_add_nc_u32 v20, 64, v20 :: v_dual_add_nc_u32 v19, s33, v19
	s_delay_alu instid0(VALU_DEP_1)
	v_cmp_le_i32_e32 vcc_lo, s7, v20
	s_or_b32 s42, vcc_lo, s42
	s_wait_xcnt 0x0
	s_and_not1_b32 exec_lo, exec_lo, s42
	s_cbranch_execz .LBB0_47
.LBB0_61:                               ;   Parent Loop BB0_12 Depth=1
                                        ;     Parent Loop BB0_49 Depth=2
                                        ; =>    This Loop Header: Depth=3
                                        ;         Child Loop BB0_63 Depth 4
                                        ;           Child Loop BB0_65 Depth 5
	s_delay_alu instid0(VALU_DEP_1) | instskip(SKIP_2) | instid1(VALU_DEP_2)
	v_add_nc_u32_e32 v21, v20, v18
	v_mov_b32_e32 v22, v16
	s_mov_b32 s43, 0
	v_mul_lo_u32 v21, v21, s7
	s_branch .LBB0_63
.LBB0_62:                               ;   in Loop: Header=BB0_63 Depth=4
	global_load_b32 v25, v24, s[12:13] scale_offset
	s_add_co_i32 s43, s43, 1
	v_add_nc_u32_e32 v22, 1, v22
	s_cmp_eq_u32 s43, s7
	s_wait_loadcnt 0x0
	v_sub_f32_e32 v23, v25, v23
	global_store_b32 v24, v23, s[12:13] scale_offset
	s_cbranch_scc1 .LBB0_60
.LBB0_63:                               ;   Parent Loop BB0_12 Depth=1
                                        ;     Parent Loop BB0_49 Depth=2
                                        ;       Parent Loop BB0_61 Depth=3
                                        ; =>      This Loop Header: Depth=4
                                        ;           Child Loop BB0_65 Depth 5
	s_wait_xcnt 0x0
	v_dual_add_nc_u32 v23, s43, v17 :: v_dual_mov_b32 v25, v22
	s_mov_b32 s44, 0
	s_delay_alu instid0(VALU_DEP_1)
	v_mul_lo_u32 v24, v23, s7
	v_mov_b32_e32 v23, 0
	s_branch .LBB0_65
.LBB0_64:                               ;   in Loop: Header=BB0_65 Depth=5
	global_load_b32 v27, v27, s[12:13] scale_offset
	s_add_co_i32 s44, s44, 1
	v_add_nc_u32_e32 v25, s7, v25
	s_cmp_eq_u32 s7, s44
	s_wait_loadcnt 0x0
	v_fmac_f32_e32 v23, v26, v27
	s_cbranch_scc1 .LBB0_71
.LBB0_65:                               ;   Parent Loop BB0_12 Depth=1
                                        ;     Parent Loop BB0_49 Depth=2
                                        ;       Parent Loop BB0_61 Depth=3
                                        ;         Parent Loop BB0_63 Depth=4
                                        ; =>        This Inner Loop Header: Depth=5
	s_and_b32 vcc_lo, exec_lo, s30
	s_cbranch_vccz .LBB0_70
; %bb.66:                               ;   in Loop: Header=BB0_65 Depth=5
	s_wait_xcnt 0x1
	v_add_nc_u32_e32 v26, s44, v8
	s_delay_alu instid0(VALU_DEP_1)
	v_mad_u32 v26, v26, s7, v20
	s_cbranch_execnz .LBB0_68
.LBB0_67:                               ;   in Loop: Header=BB0_65 Depth=5
	s_wait_xcnt 0x1
	v_add_nc_u32_e32 v26, s44, v19
.LBB0_68:                               ;   in Loop: Header=BB0_65 Depth=5
	global_load_b32 v26, v26, s[12:13] scale_offset
	s_wait_xcnt 0x1
	v_mov_b32_e32 v27, v25
	s_and_not1_b32 vcc_lo, exec_lo, s30
	s_cbranch_vccnz .LBB0_64
; %bb.69:                               ;   in Loop: Header=BB0_65 Depth=5
	v_add_nc_u32_e32 v27, s44, v24
	s_branch .LBB0_64
.LBB0_70:                               ;   in Loop: Header=BB0_65 Depth=5
                                        ; implicit-def: $vgpr26
	s_branch .LBB0_67
.LBB0_71:                               ;   in Loop: Header=BB0_63 Depth=4
	s_and_b32 vcc_lo, exec_lo, s30
	s_cbranch_vccz .LBB0_73
; %bb.72:                               ;   in Loop: Header=BB0_63 Depth=4
	v_add_nc_u32_e32 v24, s43, v18
	s_delay_alu instid0(VALU_DEP_1)
	v_mad_u32 v24, v24, s7, v20
	s_cbranch_execnz .LBB0_62
	s_branch .LBB0_74
.LBB0_73:                               ;   in Loop: Header=BB0_63 Depth=4
                                        ; implicit-def: $vgpr24
.LBB0_74:                               ;   in Loop: Header=BB0_63 Depth=4
	v_add_nc_u32_e32 v24, s43, v21
	s_branch .LBB0_62
.LBB0_75:
	s_or_b32 exec_lo, exec_lo, s36
	s_delay_alu instid0(SALU_CYCLE_1)
	s_and_b32 s2, s37, exec_lo
.LBB0_76:
	s_or_b32 exec_lo, exec_lo, s22
	global_load_b32 v0, v12, s[10:11] scale_offset
	s_wait_kmcnt 0x0
	s_cmp_gt_i32 s7, 0
	s_mov_b32 s8, 0
	s_cselect_b32 s3, -1, 0
	s_wait_loadcnt 0x0
	v_subrev_nc_u32_e32 v0, s6, v0
	s_delay_alu instid0(VALU_DEP_1)
	v_cmp_eq_u32_e32 vcc_lo, v0, v2
	s_and_b32 s0, s3, vcc_lo
	s_wait_xcnt 0x0
	s_and_saveexec_b32 s4, s0
	s_cbranch_execz .LBB0_110
; %bb.77:
	v_cvt_f64_f32_e32 v[0:1], s28
	v_mul_lo_u32 v6, v12, s7
	s_cmp_eq_u64 s[16:17], 8
	s_mul_i32 s0, s7, s7
	s_cselect_b32 vcc_lo, -1, 0
	s_cmp_lg_u32 s24, 0
	v_mad_u32 v7, v12, s0, 1
	s_cselect_b32 s9, -1, 0
	s_add_co_i32 s10, s7, 1
	v_cmp_eq_u32_e64 s0, 0, v10
	s_lshl_b32 s11, s7, 6
	v_dual_mov_b32 v9, 0 :: v_dual_add_nc_u32 v8, v6, v10
	s_add_co_i32 s14, s7, -1
	s_mov_b32 s16, s2
                                        ; implicit-def: $sgpr15
	s_delay_alu instid0(VALU_DEP_1)
	v_mad_u32 v8, s7, v8, s10
	s_wait_dscnt 0x0
	v_dual_cndmask_b32 v1, v1, v5 :: v_dual_cndmask_b32 v0, v0, v4
	s_branch .LBB0_79
.LBB0_78:                               ;   in Loop: Header=BB0_79 Depth=1
	s_or_b32 exec_lo, exec_lo, s1
	s_delay_alu instid0(VALU_DEP_1)
	v_cmp_eq_u32_e32 vcc_lo, s7, v4
	s_add_co_i32 s14, s14, -1
	v_dual_add_nc_u32 v7, s10, v7 :: v_dual_add_nc_u32 v8, s10, v8
	v_mov_b32_e32 v9, v4
	s_or_b32 s8, vcc_lo, s8
	s_and_not1_b32 s1, s15, exec_lo
	s_and_b32 s15, s16, exec_lo
	s_delay_alu instid0(SALU_CYCLE_1)
	s_or_b32 s15, s1, s15
	s_and_not1_b32 exec_lo, exec_lo, s8
	s_cbranch_execz .LBB0_109
.LBB0_79:                               ; =>This Loop Header: Depth=1
                                        ;     Child Loop BB0_89 Depth 2
                                        ;       Child Loop BB0_98 Depth 3
	v_add_nc_u32_e32 v4, v9, v6
	s_mov_b32 s17, 0
	s_and_not1_b32 vcc_lo, exec_lo, s26
	s_mov_b32 s1, 0
	s_mov_b32 s22, -1
	v_mul_lo_u32 v13, v4, s7
                                        ; implicit-def: $vgpr15
	s_delay_alu instid0(VALU_DEP_1)
	v_add_nc_u32_e32 v4, v13, v9
	global_load_b32 v14, v4, s[12:13] scale_offset
	s_cbranch_vccnz .LBB0_83
; %bb.80:                               ;   in Loop: Header=BB0_79 Depth=1
	s_wait_loadcnt 0x0
	v_cmp_gt_f32_e32 vcc_lo, 0, v14
	v_cndmask_b32_e64 v5, v14, -v14, vcc_lo
	s_delay_alu instid0(VALU_DEP_1) | instskip(NEXT) | instid1(VALU_DEP_1)
	v_cvt_f64_f32_e32 v[16:17], v5
	v_cmp_ge_f64_e32 vcc_lo, v[0:1], v[16:17]
	v_cndmask_b32_e64 v15, v14, s27, vcc_lo
	s_wait_xcnt 0x0
	s_and_saveexec_b32 s1, s0
	s_cbranch_execz .LBB0_82
; %bb.81:                               ;   in Loop: Header=BB0_79 Depth=1
	v_ashrrev_i32_e32 v5, 31, v4
	s_delay_alu instid0(VALU_DEP_1)
	v_lshl_add_u64 v[4:5], v[4:5], 2, s[12:13]
	global_store_b32 v[4:5], v15, off
.LBB0_82:                               ;   in Loop: Header=BB0_79 Depth=1
	s_wait_xcnt 0x0
	s_or_b32 exec_lo, exec_lo, s1
	s_mov_b32 s22, 0
	s_mov_b32 s1, -1
.LBB0_83:                               ;   in Loop: Header=BB0_79 Depth=1
	s_and_not1_b32 vcc_lo, exec_lo, s22
	s_cbranch_vccnz .LBB0_85
; %bb.84:                               ;   in Loop: Header=BB0_79 Depth=1
	s_wait_loadcnt 0x0
	v_cmp_neq_f32_e32 vcc_lo, 0, v14
	s_and_not1_b32 s1, s1, exec_lo
	s_mov_b32 s17, -1
	s_and_b32 s22, vcc_lo, exec_lo
	s_delay_alu instid0(SALU_CYCLE_1) | instskip(SKIP_2) | instid1(SALU_CYCLE_1)
	s_or_b32 s1, s1, s22
                                        ; implicit-def: $vgpr4
	s_wait_xcnt 0x0
	s_and_saveexec_b32 s22, s1
	s_xor_b32 s22, exec_lo, s22
	s_cbranch_execnz .LBB0_86
	s_branch .LBB0_107
.LBB0_85:                               ;   in Loop: Header=BB0_79 Depth=1
	s_wait_loadcnt 0x0
	v_mov_b32_e32 v14, v15
                                        ; implicit-def: $vgpr4
	s_wait_xcnt 0x0
	s_and_saveexec_b32 s22, s1
	s_delay_alu instid0(SALU_CYCLE_1)
	s_xor_b32 s22, exec_lo, s22
	s_cbranch_execz .LBB0_107
.LBB0_86:                               ;   in Loop: Header=BB0_79 Depth=1
	v_add_nc_u32_e32 v4, 1, v9
	s_mov_b32 s23, exec_lo
	s_delay_alu instid0(VALU_DEP_1) | instskip(NEXT) | instid1(VALU_DEP_1)
	v_add_nc_u32_e32 v5, v4, v10
	v_cmpx_gt_i32_e64 s7, v5
	s_cbranch_execz .LBB0_106
; %bb.87:                               ;   in Loop: Header=BB0_79 Depth=1
	v_cmp_gt_i32_e64 s1, s7, v4
	v_mov_b32_e32 v15, v8
	s_mov_b32 s25, 0
	s_branch .LBB0_89
.LBB0_88:                               ;   in Loop: Header=BB0_89 Depth=2
	s_wait_xcnt 0x0
	s_or_b32 exec_lo, exec_lo, s28
	v_dual_add_nc_u32 v5, 64, v5 :: v_dual_add_nc_u32 v15, s11, v15
	s_delay_alu instid0(VALU_DEP_1) | instskip(SKIP_1) | instid1(SALU_CYCLE_1)
	v_cmp_le_i32_e32 vcc_lo, s7, v5
	s_or_b32 s25, vcc_lo, s25
	s_and_not1_b32 exec_lo, exec_lo, s25
	s_cbranch_execz .LBB0_106
.LBB0_89:                               ;   Parent Loop BB0_79 Depth=1
                                        ; =>  This Loop Header: Depth=2
                                        ;       Child Loop BB0_98 Depth 3
	v_add_nc_u32_e32 v17, v5, v13
	s_and_b32 vcc_lo, exec_lo, s9
	s_cbranch_vccz .LBB0_104
; %bb.90:                               ;   in Loop: Header=BB0_89 Depth=2
	v_add_nc_u32_e32 v16, v5, v13
	s_cbranch_execnz .LBB0_92
.LBB0_91:                               ;   in Loop: Header=BB0_89 Depth=2
	v_add_nc_u32_e32 v16, v5, v6
	s_delay_alu instid0(VALU_DEP_1)
	v_mad_u32 v16, v16, s7, v9
.LBB0_92:                               ;   in Loop: Header=BB0_89 Depth=2
	global_load_b32 v16, v16, s[12:13] scale_offset
	s_and_b32 vcc_lo, exec_lo, s9
	s_cbranch_vccz .LBB0_105
; %bb.93:                               ;   in Loop: Header=BB0_89 Depth=2
	s_cbranch_execnz .LBB0_95
.LBB0_94:                               ;   in Loop: Header=BB0_89 Depth=2
	v_add_nc_u32_e32 v17, v5, v6
	s_delay_alu instid0(VALU_DEP_1)
	v_mad_u32 v17, v17, s7, v9
.LBB0_95:                               ;   in Loop: Header=BB0_89 Depth=2
	s_wait_loadcnt 0x0
	v_div_scale_f32 v18, null, v14, v14, v16
	s_delay_alu instid0(VALU_DEP_1) | instskip(SKIP_1) | instid1(TRANS32_DEP_1)
	v_rcp_f32_e32 v19, v18
	v_nop
	v_fma_f32 v20, -v18, v19, 1.0
	s_delay_alu instid0(VALU_DEP_1) | instskip(SKIP_1) | instid1(VALU_DEP_1)
	v_fmac_f32_e32 v19, v20, v19
	v_div_scale_f32 v20, vcc_lo, v16, v14, v16
	v_mul_f32_e32 v21, v20, v19
	s_delay_alu instid0(VALU_DEP_1) | instskip(NEXT) | instid1(VALU_DEP_1)
	v_fma_f32 v22, -v18, v21, v20
	v_fmac_f32_e32 v21, v22, v19
	s_delay_alu instid0(VALU_DEP_1) | instskip(NEXT) | instid1(VALU_DEP_1)
	v_fma_f32 v18, -v18, v21, v20
	v_div_fmas_f32 v18, v18, v19, v21
	s_wait_xcnt 0x0
	s_delay_alu instid0(VALU_DEP_1)
	v_div_fixup_f32 v16, v18, v14, v16
	global_store_b32 v17, v16, s[12:13] scale_offset
	s_wait_xcnt 0x0
	s_and_saveexec_b32 s28, s1
	s_cbranch_execz .LBB0_88
; %bb.96:                               ;   in Loop: Header=BB0_89 Depth=2
	v_dual_mov_b32 v17, v15 :: v_dual_mov_b32 v18, v7
	v_mov_b32_e32 v19, v4
	s_mov_b32 s29, s14
	s_branch .LBB0_98
.LBB0_97:                               ;   in Loop: Header=BB0_98 Depth=3
	s_wait_loadcnt 0x0
	s_wait_xcnt 0x1
	v_dual_fma_f32 v20, -v16, v20, v23 :: v_dual_add_nc_u32 v19, 1, v19
	v_dual_add_nc_u32 v18, 1, v18 :: v_dual_add_nc_u32 v17, 1, v17
	s_add_co_i32 s29, s29, -1
	global_store_b32 v21, v20, s[12:13] scale_offset
	s_cmp_eq_u32 s29, 0
	s_cbranch_scc1 .LBB0_88
.LBB0_98:                               ;   Parent Loop BB0_79 Depth=1
                                        ;     Parent Loop BB0_89 Depth=2
                                        ; =>    This Inner Loop Header: Depth=3
	s_wait_xcnt 0x0
	s_delay_alu instid0(VALU_DEP_1)
	v_dual_mov_b32 v20, v18 :: v_dual_add_nc_u32 v21, v19, v6
	s_and_not1_b32 vcc_lo, exec_lo, s9
	s_cbranch_vccnz .LBB0_100
; %bb.99:                               ;   in Loop: Header=BB0_98 Depth=3
	s_delay_alu instid0(VALU_DEP_1)
	v_mad_u32 v20, v21, s7, v9
.LBB0_100:                              ;   in Loop: Header=BB0_98 Depth=3
	global_load_b32 v20, v20, s[12:13] scale_offset
	v_mad_u32 v22, v21, s7, v5
	v_mov_b32_e32 v23, v17
	s_and_not1_b32 vcc_lo, exec_lo, s9
	s_cbranch_vccnz .LBB0_102
; %bb.101:                              ;   in Loop: Header=BB0_98 Depth=3
	v_mad_u32 v23, v21, s7, v5
.LBB0_102:                              ;   in Loop: Header=BB0_98 Depth=3
	global_load_b32 v23, v23, s[12:13] scale_offset
	v_mov_b32_e32 v21, v17
	s_and_not1_b32 vcc_lo, exec_lo, s9
	s_cbranch_vccnz .LBB0_97
; %bb.103:                              ;   in Loop: Header=BB0_98 Depth=3
	v_mov_b32_e32 v21, v22
	s_branch .LBB0_97
.LBB0_104:                              ;   in Loop: Header=BB0_89 Depth=2
                                        ; implicit-def: $vgpr16
	s_branch .LBB0_91
.LBB0_105:                              ;   in Loop: Header=BB0_89 Depth=2
                                        ; implicit-def: $vgpr17
	s_branch .LBB0_94
.LBB0_106:                              ;   in Loop: Header=BB0_79 Depth=1
	s_or_b32 exec_lo, exec_lo, s23
	s_delay_alu instid0(SALU_CYCLE_1)
	s_and_not1_b32 s17, s17, exec_lo
.LBB0_107:                              ;   in Loop: Header=BB0_79 Depth=1
	s_or_b32 exec_lo, exec_lo, s22
	s_delay_alu instid0(SALU_CYCLE_1) | instskip(SKIP_1) | instid1(SALU_CYCLE_1)
	s_and_not1_b32 s1, s16, exec_lo
	s_and_b32 s16, s16, exec_lo
	s_or_b32 s16, s1, s16
	s_and_saveexec_b32 s1, s17
	s_cbranch_execz .LBB0_78
; %bb.108:                              ;   in Loop: Header=BB0_79 Depth=1
	v_add_nc_u32_e32 v4, 1, v9
	s_or_b32 s16, s16, exec_lo
	s_branch .LBB0_78
.LBB0_109:
	s_or_b32 exec_lo, exec_lo, s8
	s_delay_alu instid0(SALU_CYCLE_1) | instskip(SKIP_1) | instid1(SALU_CYCLE_1)
	s_and_not1_b32 s0, s2, exec_lo
	s_and_b32 s1, s15, exec_lo
	s_or_b32 s2, s0, s1
.LBB0_110:
	s_or_b32 exec_lo, exec_lo, s4
	v_add_nc_u32_e32 v0, 1, v12
	s_mov_b32 s1, exec_lo
	s_delay_alu instid0(VALU_DEP_1)
	v_cmpx_lt_i32_e64 v0, v11
	s_cbranch_execz .LBB0_134
; %bb.111:
	v_mul_lo_u32 v1, v12, s7
	s_mul_i32 s4, s7, s7
	v_cmp_gt_i32_e64 s0, s7, v10
	s_wait_dscnt 0x0
	v_mul_lo_u32 v5, s4, v0
	s_cmp_lg_u32 s24, 0
	s_mov_b32 s8, 0
	s_cselect_b32 s9, -1, 0
	s_add_co_i32 s10, s7, 1
	s_add_co_i32 s11, s7, -1
	v_mad_u32 v4, s7, v1, s7
	s_delay_alu instid0(VALU_DEP_2)
	v_add3_u32 v5, v5, s7, v10
	s_branch .LBB0_113
.LBB0_112:                              ;   in Loop: Header=BB0_113 Depth=1
	s_delay_alu instid0(VALU_DEP_1) | instskip(NEXT) | instid1(VALU_DEP_1)
	v_dual_add_nc_u32 v0, 1, v0 :: v_dual_add_nc_u32 v5, s4, v5
	v_cmp_ge_i32_e32 vcc_lo, v0, v11
	s_or_b32 s8, vcc_lo, s8
	s_delay_alu instid0(SALU_CYCLE_1)
	s_and_not1_b32 exec_lo, exec_lo, s8
	s_cbranch_execz .LBB0_134
.LBB0_113:                              ; =>This Loop Header: Depth=1
                                        ;     Child Loop BB0_116 Depth 2
                                        ;       Child Loop BB0_119 Depth 3
                                        ;         Child Loop BB0_122 Depth 4
	s_and_not1_b32 vcc_lo, exec_lo, s3
	s_cbranch_vccnz .LBB0_112
; %bb.114:                              ;   in Loop: Header=BB0_113 Depth=1
	v_mul_lo_u32 v6, v0, s7
	s_delay_alu instid0(VALU_DEP_3)
	v_dual_mov_b32 v7, v5 :: v_dual_mov_b32 v8, v4
	s_mov_b32 s15, 0
	s_mov_b32 s14, s11
	s_branch .LBB0_116
.LBB0_115:                              ;   in Loop: Header=BB0_116 Depth=2
	s_or_b32 exec_lo, exec_lo, s17
	v_dual_add_nc_u32 v8, s10, v8 :: v_dual_add_nc_u32 v7, s7, v7
	s_add_co_i32 s14, s14, -1
	s_cmp_eq_u32 s16, s7
	s_mov_b32 s15, s16
	s_cbranch_scc1 .LBB0_112
.LBB0_116:                              ;   Parent Loop BB0_113 Depth=1
                                        ; =>  This Loop Header: Depth=2
                                        ;       Child Loop BB0_119 Depth 3
                                        ;         Child Loop BB0_122 Depth 4
	s_add_co_i32 s16, s15, 1
	s_and_saveexec_b32 s17, s0
	s_cbranch_execz .LBB0_115
; %bb.117:                              ;   in Loop: Header=BB0_116 Depth=2
	s_delay_alu instid0(VALU_DEP_2) | instskip(SKIP_2) | instid1(VALU_DEP_2)
	v_dual_add_nc_u32 v9, s15, v1 :: v_dual_add_nc_u32 v12, s15, v6
	v_dual_mov_b32 v13, v7 :: v_dual_mov_b32 v14, v10
	s_cmp_lt_i32 s16, s7
	v_mul_lo_u32 v9, v9, s7
	s_delay_alu instid0(VALU_DEP_3)
	v_mul_lo_u32 v12, v12, s7
	s_cselect_b32 s22, -1, 0
	s_mov_b32 s23, 0
	s_branch .LBB0_119
.LBB0_118:                              ;   in Loop: Header=BB0_119 Depth=3
	v_dual_add_nc_u32 v14, 64, v14 :: v_dual_add_nc_u32 v13, 64, v13
	s_delay_alu instid0(VALU_DEP_1)
	v_cmp_le_i32_e32 vcc_lo, s7, v14
	s_or_b32 s23, vcc_lo, s23
	s_wait_xcnt 0x0
	s_and_not1_b32 exec_lo, exec_lo, s23
	s_cbranch_execz .LBB0_115
.LBB0_119:                              ;   Parent Loop BB0_113 Depth=1
                                        ;     Parent Loop BB0_116 Depth=2
                                        ; =>    This Loop Header: Depth=3
                                        ;         Child Loop BB0_122 Depth 4
	s_and_not1_b32 vcc_lo, exec_lo, s22
	s_cbranch_vccnz .LBB0_118
; %bb.120:                              ;   in Loop: Header=BB0_119 Depth=3
	s_delay_alu instid0(VALU_DEP_1) | instskip(SKIP_3) | instid1(VALU_DEP_1)
	v_dual_add_nc_u32 v15, v14, v6 :: v_dual_add_nc_u32 v17, v14, v12
	s_mov_b32 s24, 0
	s_mov_b32 s25, s14
	;; [unrolled: 1-line block ×3, first 2 shown]
	v_mul_lo_u32 v15, v15, s7
	s_delay_alu instid0(VALU_DEP_1)
	v_add_nc_u32_e32 v16, s15, v15
	s_branch .LBB0_122
.LBB0_121:                              ;   in Loop: Header=BB0_122 Depth=4
	s_wait_loadcnt 0x0
	v_fma_f32 v18, -v18, v19, v22
	s_add_co_i32 s25, s25, -1
	s_add_co_i32 s26, s26, 1
	s_add_co_i32 s24, s24, s7
	s_cmp_eq_u32 s25, 0
	global_store_b32 v20, v18, s[12:13] scale_offset
	s_cbranch_scc1 .LBB0_118
.LBB0_122:                              ;   Parent Loop BB0_113 Depth=1
                                        ;     Parent Loop BB0_116 Depth=2
                                        ;       Parent Loop BB0_119 Depth=3
                                        ; =>      This Inner Loop Header: Depth=4
	s_and_b32 vcc_lo, exec_lo, s9
	s_cbranch_vccz .LBB0_130
; %bb.123:                              ;   in Loop: Header=BB0_122 Depth=4
	s_wait_xcnt 0x0
	v_add_nc_u32_e32 v20, s26, v9
	v_mov_b32_e32 v21, v16
	s_cbranch_execnz .LBB0_125
.LBB0_124:                              ;   in Loop: Header=BB0_122 Depth=4
	s_wait_xcnt 0x0
	v_dual_mov_b32 v21, v17 :: v_dual_add_nc_u32 v20, s24, v8
.LBB0_125:                              ;   in Loop: Header=BB0_122 Depth=4
	s_clause 0x1
	global_load_b32 v18, v20, s[12:13] scale_offset
	global_load_b32 v19, v21, s[12:13] scale_offset
	s_wait_xcnt 0x1
	v_add_nc_u32_e32 v20, s26, v15
	s_and_b32 vcc_lo, exec_lo, s9
	s_cbranch_vccz .LBB0_131
; %bb.126:                              ;   in Loop: Header=BB0_122 Depth=4
	v_add_nc_u32_e32 v22, s26, v15
	s_wait_xcnt 0x0
	v_add_nc_u32_e32 v21, s24, v13
	s_cbranch_execnz .LBB0_128
.LBB0_127:                              ;   in Loop: Header=BB0_122 Depth=4
	v_add_nc_u32_e32 v22, s24, v13
.LBB0_128:                              ;   in Loop: Header=BB0_122 Depth=4
	global_load_b32 v22, v22, s[12:13] scale_offset
	s_and_b32 vcc_lo, exec_lo, s9
	s_cbranch_vccz .LBB0_132
; %bb.129:                              ;   in Loop: Header=BB0_122 Depth=4
	s_cbranch_execnz .LBB0_121
	s_branch .LBB0_133
.LBB0_130:                              ;   in Loop: Header=BB0_122 Depth=4
                                        ; implicit-def: $vgpr20
	s_delay_alu instid0(VALU_DEP_1)
	v_mov_b32_e32 v21, v16
	s_branch .LBB0_124
.LBB0_131:                              ;   in Loop: Header=BB0_122 Depth=4
                                        ; implicit-def: $vgpr22
	s_wait_xcnt 0x0
	v_add_nc_u32_e32 v21, s24, v13
	s_branch .LBB0_127
.LBB0_132:                              ;   in Loop: Header=BB0_122 Depth=4
                                        ; implicit-def: $vgpr20
.LBB0_133:                              ;   in Loop: Header=BB0_122 Depth=4
	v_mov_b32_e32 v20, v21
	s_branch .LBB0_121
.LBB0_134:
	s_or_b32 exec_lo, exec_lo, s1
	s_delay_alu instid0(SALU_CYCLE_1)
	s_or_not1_b32 s2, s2, exec_lo
.LBB0_135:
	s_or_b32 exec_lo, exec_lo, s5
	v_cmp_eq_u32_e32 vcc_lo, 0, v10
	s_and_b32 exec_lo, exec_lo, vcc_lo
	s_cbranch_execz .LBB0_141
; %bb.136:
	v_lshl_add_u64 v[0:1], v[2:3], 2, s[20:21]
	v_mov_b32_e32 v3, 1
	global_wb scope:SCOPE_DEV
	s_wait_storecnt_dscnt 0x0
	global_store_b32 v[0:1], v3, off scope:SCOPE_DEV
	s_wait_xcnt 0x0
	s_and_b32 exec_lo, exec_lo, s2
	s_cbranch_execz .LBB0_141
; %bb.137:
	v_add_nc_u32_e32 v0, s6, v2
	s_mov_b32 s1, exec_lo
	s_brev_b32 s0, -2
.LBB0_138:                              ; =>This Inner Loop Header: Depth=1
	s_ctz_i32_b32 s2, s1
	s_delay_alu instid0(VALU_DEP_1) | instid1(SALU_CYCLE_1)
	v_readlane_b32 s3, v0, s2
	s_lshl_b32 s2, 1, s2
	s_delay_alu instid0(SALU_CYCLE_1)
	s_and_not1_b32 s1, s1, s2
	s_min_i32 s0, s0, s3
	s_cmp_lg_u32 s1, 0
	s_cbranch_scc1 .LBB0_138
; %bb.139:
	v_mbcnt_lo_u32_b32 v0, exec_lo, 0
	s_mov_b32 s1, exec_lo
	s_delay_alu instid0(VALU_DEP_1)
	v_cmpx_eq_u32_e32 0, v0
	s_xor_b32 s1, exec_lo, s1
	s_cbranch_execz .LBB0_141
; %bb.140:
	v_dual_mov_b32 v0, 0 :: v_dual_mov_b32 v1, s0
	global_atomic_min_i32 v0, v1, s[18:19] scope:SCOPE_DEV
.LBB0_141:
	s_endpgm
	.section	.rodata,"a",@progbits
	.p2align	6, 0x0
	.amdhsa_kernel _ZN9rocsparseL15bsrilu0_generalILj128ELj64ELb1EfEEv20rocsparse_direction_iPKiS3_PT2_S3_iPiS3_S6_21rocsparse_index_base_imNS_24const_host_device_scalarIfEENS8_IdEENS8_IS4_EEb
		.amdhsa_group_segment_fixed_size 0
		.amdhsa_private_segment_fixed_size 0
		.amdhsa_kernarg_size 116
		.amdhsa_user_sgpr_count 2
		.amdhsa_user_sgpr_dispatch_ptr 0
		.amdhsa_user_sgpr_queue_ptr 0
		.amdhsa_user_sgpr_kernarg_segment_ptr 1
		.amdhsa_user_sgpr_dispatch_id 0
		.amdhsa_user_sgpr_kernarg_preload_length 0
		.amdhsa_user_sgpr_kernarg_preload_offset 0
		.amdhsa_user_sgpr_private_segment_size 0
		.amdhsa_wavefront_size32 1
		.amdhsa_uses_dynamic_stack 0
		.amdhsa_enable_private_segment 0
		.amdhsa_system_sgpr_workgroup_id_x 1
		.amdhsa_system_sgpr_workgroup_id_y 0
		.amdhsa_system_sgpr_workgroup_id_z 0
		.amdhsa_system_sgpr_workgroup_info 0
		.amdhsa_system_vgpr_workitem_id 0
		.amdhsa_next_free_vgpr 33
		.amdhsa_next_free_sgpr 46
		.amdhsa_named_barrier_count 0
		.amdhsa_reserve_vcc 1
		.amdhsa_float_round_mode_32 0
		.amdhsa_float_round_mode_16_64 0
		.amdhsa_float_denorm_mode_32 3
		.amdhsa_float_denorm_mode_16_64 3
		.amdhsa_fp16_overflow 0
		.amdhsa_memory_ordered 1
		.amdhsa_forward_progress 1
		.amdhsa_inst_pref_size 32
		.amdhsa_round_robin_scheduling 0
		.amdhsa_exception_fp_ieee_invalid_op 0
		.amdhsa_exception_fp_denorm_src 0
		.amdhsa_exception_fp_ieee_div_zero 0
		.amdhsa_exception_fp_ieee_overflow 0
		.amdhsa_exception_fp_ieee_underflow 0
		.amdhsa_exception_fp_ieee_inexact 0
		.amdhsa_exception_int_div_zero 0
	.end_amdhsa_kernel
	.section	.text._ZN9rocsparseL15bsrilu0_generalILj128ELj64ELb1EfEEv20rocsparse_direction_iPKiS3_PT2_S3_iPiS3_S6_21rocsparse_index_base_imNS_24const_host_device_scalarIfEENS8_IdEENS8_IS4_EEb,"axG",@progbits,_ZN9rocsparseL15bsrilu0_generalILj128ELj64ELb1EfEEv20rocsparse_direction_iPKiS3_PT2_S3_iPiS3_S6_21rocsparse_index_base_imNS_24const_host_device_scalarIfEENS8_IdEENS8_IS4_EEb,comdat
.Lfunc_end0:
	.size	_ZN9rocsparseL15bsrilu0_generalILj128ELj64ELb1EfEEv20rocsparse_direction_iPKiS3_PT2_S3_iPiS3_S6_21rocsparse_index_base_imNS_24const_host_device_scalarIfEENS8_IdEENS8_IS4_EEb, .Lfunc_end0-_ZN9rocsparseL15bsrilu0_generalILj128ELj64ELb1EfEEv20rocsparse_direction_iPKiS3_PT2_S3_iPiS3_S6_21rocsparse_index_base_imNS_24const_host_device_scalarIfEENS8_IdEENS8_IS4_EEb
                                        ; -- End function
	.set _ZN9rocsparseL15bsrilu0_generalILj128ELj64ELb1EfEEv20rocsparse_direction_iPKiS3_PT2_S3_iPiS3_S6_21rocsparse_index_base_imNS_24const_host_device_scalarIfEENS8_IdEENS8_IS4_EEb.num_vgpr, 33
	.set _ZN9rocsparseL15bsrilu0_generalILj128ELj64ELb1EfEEv20rocsparse_direction_iPKiS3_PT2_S3_iPiS3_S6_21rocsparse_index_base_imNS_24const_host_device_scalarIfEENS8_IdEENS8_IS4_EEb.num_agpr, 0
	.set _ZN9rocsparseL15bsrilu0_generalILj128ELj64ELb1EfEEv20rocsparse_direction_iPKiS3_PT2_S3_iPiS3_S6_21rocsparse_index_base_imNS_24const_host_device_scalarIfEENS8_IdEENS8_IS4_EEb.numbered_sgpr, 46
	.set _ZN9rocsparseL15bsrilu0_generalILj128ELj64ELb1EfEEv20rocsparse_direction_iPKiS3_PT2_S3_iPiS3_S6_21rocsparse_index_base_imNS_24const_host_device_scalarIfEENS8_IdEENS8_IS4_EEb.num_named_barrier, 0
	.set _ZN9rocsparseL15bsrilu0_generalILj128ELj64ELb1EfEEv20rocsparse_direction_iPKiS3_PT2_S3_iPiS3_S6_21rocsparse_index_base_imNS_24const_host_device_scalarIfEENS8_IdEENS8_IS4_EEb.private_seg_size, 0
	.set _ZN9rocsparseL15bsrilu0_generalILj128ELj64ELb1EfEEv20rocsparse_direction_iPKiS3_PT2_S3_iPiS3_S6_21rocsparse_index_base_imNS_24const_host_device_scalarIfEENS8_IdEENS8_IS4_EEb.uses_vcc, 1
	.set _ZN9rocsparseL15bsrilu0_generalILj128ELj64ELb1EfEEv20rocsparse_direction_iPKiS3_PT2_S3_iPiS3_S6_21rocsparse_index_base_imNS_24const_host_device_scalarIfEENS8_IdEENS8_IS4_EEb.uses_flat_scratch, 0
	.set _ZN9rocsparseL15bsrilu0_generalILj128ELj64ELb1EfEEv20rocsparse_direction_iPKiS3_PT2_S3_iPiS3_S6_21rocsparse_index_base_imNS_24const_host_device_scalarIfEENS8_IdEENS8_IS4_EEb.has_dyn_sized_stack, 0
	.set _ZN9rocsparseL15bsrilu0_generalILj128ELj64ELb1EfEEv20rocsparse_direction_iPKiS3_PT2_S3_iPiS3_S6_21rocsparse_index_base_imNS_24const_host_device_scalarIfEENS8_IdEENS8_IS4_EEb.has_recursion, 0
	.set _ZN9rocsparseL15bsrilu0_generalILj128ELj64ELb1EfEEv20rocsparse_direction_iPKiS3_PT2_S3_iPiS3_S6_21rocsparse_index_base_imNS_24const_host_device_scalarIfEENS8_IdEENS8_IS4_EEb.has_indirect_call, 0
	.section	.AMDGPU.csdata,"",@progbits
; Kernel info:
; codeLenInByte = 3984
; TotalNumSgprs: 48
; NumVgprs: 33
; ScratchSize: 0
; MemoryBound: 0
; FloatMode: 240
; IeeeMode: 1
; LDSByteSize: 0 bytes/workgroup (compile time only)
; SGPRBlocks: 0
; VGPRBlocks: 2
; NumSGPRsForWavesPerEU: 48
; NumVGPRsForWavesPerEU: 33
; NamedBarCnt: 0
; Occupancy: 16
; WaveLimiterHint : 1
; COMPUTE_PGM_RSRC2:SCRATCH_EN: 0
; COMPUTE_PGM_RSRC2:USER_SGPR: 2
; COMPUTE_PGM_RSRC2:TRAP_HANDLER: 0
; COMPUTE_PGM_RSRC2:TGID_X_EN: 1
; COMPUTE_PGM_RSRC2:TGID_Y_EN: 0
; COMPUTE_PGM_RSRC2:TGID_Z_EN: 0
; COMPUTE_PGM_RSRC2:TIDIG_COMP_CNT: 0
	.section	.text._ZN9rocsparseL15bsrilu0_generalILj128ELj32ELb0EfEEv20rocsparse_direction_iPKiS3_PT2_S3_iPiS3_S6_21rocsparse_index_base_imNS_24const_host_device_scalarIfEENS8_IdEENS8_IS4_EEb,"axG",@progbits,_ZN9rocsparseL15bsrilu0_generalILj128ELj32ELb0EfEEv20rocsparse_direction_iPKiS3_PT2_S3_iPiS3_S6_21rocsparse_index_base_imNS_24const_host_device_scalarIfEENS8_IdEENS8_IS4_EEb,comdat
	.globl	_ZN9rocsparseL15bsrilu0_generalILj128ELj32ELb0EfEEv20rocsparse_direction_iPKiS3_PT2_S3_iPiS3_S6_21rocsparse_index_base_imNS_24const_host_device_scalarIfEENS8_IdEENS8_IS4_EEb ; -- Begin function _ZN9rocsparseL15bsrilu0_generalILj128ELj32ELb0EfEEv20rocsparse_direction_iPKiS3_PT2_S3_iPiS3_S6_21rocsparse_index_base_imNS_24const_host_device_scalarIfEENS8_IdEENS8_IS4_EEb
	.p2align	8
	.type	_ZN9rocsparseL15bsrilu0_generalILj128ELj32ELb0EfEEv20rocsparse_direction_iPKiS3_PT2_S3_iPiS3_S6_21rocsparse_index_base_imNS_24const_host_device_scalarIfEENS8_IdEENS8_IS4_EEb,@function
_ZN9rocsparseL15bsrilu0_generalILj128ELj32ELb0EfEEv20rocsparse_direction_iPKiS3_PT2_S3_iPiS3_S6_21rocsparse_index_base_imNS_24const_host_device_scalarIfEENS8_IdEENS8_IS4_EEb: ; @_ZN9rocsparseL15bsrilu0_generalILj128ELj32ELb0EfEEv20rocsparse_direction_iPKiS3_PT2_S3_iPiS3_S6_21rocsparse_index_base_imNS_24const_host_device_scalarIfEENS8_IdEENS8_IS4_EEb
; %bb.0:
	s_clause 0x2
	s_load_b32 s2, s[0:1], 0x70
	s_load_b64 s[6:7], s[0:1], 0x48
	s_load_b256 s[16:23], s[0:1], 0x50
	s_wait_kmcnt 0x0
	s_bitcmp1_b32 s2, 0
	s_cselect_b32 s2, -1, 0
	s_cmp_eq_u32 s7, 0
	s_cselect_b32 s4, -1, 0
	s_cmp_lg_u32 s7, 0
	s_cselect_b32 s26, -1, 0
	s_or_b32 s7, s4, s2
	s_delay_alu instid0(SALU_CYCLE_1)
	s_xor_b32 s5, s7, -1
	s_and_b32 s2, s4, exec_lo
	s_cselect_b32 s3, 0, s21
	s_cselect_b32 s2, 0, s20
	;; [unrolled: 1-line block ×3, first 2 shown]
	s_and_b32 vcc_lo, exec_lo, s7
	s_cbranch_vccnz .LBB1_2
; %bb.1:
	s_load_b32 s28, s[18:19], 0x0
	s_mov_b64 s[2:3], s[20:21]
.LBB1_2:
	s_delay_alu instid0(SALU_CYCLE_1)
	v_mov_b64_e32 v[4:5], s[2:3]
	v_cndmask_b32_e64 v1, 0, 1, s5
	s_and_not1_b32 vcc_lo, exec_lo, s5
	s_cbranch_vccnz .LBB1_4
; %bb.3:
	v_mov_b32_e32 v2, 0
	flat_load_b64 v[4:5], v2, s[20:21]
.LBB1_4:
	s_delay_alu instid0(VALU_DEP_1)
	v_cmp_ne_u32_e32 vcc_lo, 1, v1
	s_and_b32 s2, s4, exec_lo
	s_cselect_b32 s27, 0, s22
	s_cbranch_vccnz .LBB1_6
; %bb.5:
	s_load_b32 s27, s[22:23], 0x0
.LBB1_6:
	s_load_b64 s[24:25], s[0:1], 0x0
	s_bfe_u32 s2, ttmp6, 0x4000c
	s_and_b32 s3, ttmp6, 15
	s_add_co_i32 s2, s2, 1
	s_getreg_b32 s4, hwreg(HW_REG_IB_STS2, 6, 4)
	s_mul_i32 s2, ttmp9, s2
	v_lshrrev_b32_e32 v1, 5, v0
	s_add_co_i32 s3, s3, s2
	s_cmp_eq_u32 s4, 0
	s_cselect_b32 s2, ttmp9, s3
	s_delay_alu instid0(SALU_CYCLE_1) | instskip(NEXT) | instid1(SALU_CYCLE_1)
	s_lshl_b32 s2, s2, 2
	v_and_or_b32 v1, 0x7fffffc, s2, v1
	s_mov_b32 s2, exec_lo
	s_wait_kmcnt 0x0
	s_delay_alu instid0(VALU_DEP_1)
	v_cmpx_gt_i32_e64 s25, v1
	s_cbranch_execz .LBB1_139
; %bb.7:
	s_clause 0x2
	s_load_b128 s[20:23], s[0:1], 0x30
	s_load_b64 s[18:19], s[0:1], 0x40
	s_load_b256 s[8:15], s[0:1], 0x8
	s_mov_b32 s2, -1
	s_mov_b32 s5, exec_lo
	s_wait_kmcnt 0x0
	global_load_b32 v2, v1, s[22:23] scale_offset
	s_wait_loadcnt 0x0
	v_dual_ashrrev_i32 v3, 31, v2 :: v_dual_bitop2_b32 v10, 31, v0 bitop3:0x40
	global_load_b32 v12, v2, s[14:15] scale_offset
	s_wait_loadcnt 0x0
	v_cmpx_ne_u32_e32 -1, v12
	s_cbranch_execz .LBB1_133
; %bb.8:
	v_lshl_add_u64 v[0:1], v[2:3], 2, s[8:9]
	s_load_b32 s7, s[0:1], 0x28
	s_mov_b32 s2, 0
	s_mov_b32 s22, exec_lo
	global_load_b64 v[0:1], v[0:1], off
	s_wait_loadcnt 0x0
	v_subrev_nc_u32_e32 v13, s6, v0
	v_subrev_nc_u32_e32 v11, s6, v1
	s_delay_alu instid0(VALU_DEP_2)
	v_cmpx_lt_i32_e64 v13, v12
	s_cbranch_execz .LBB1_74
; %bb.9:
	s_wait_kmcnt 0x0
	v_mad_u32 v1, s7, v13, v10
	v_add_nc_u32_e32 v0, v13, v10
	s_cmp_gt_i32 s7, 0
	v_cmp_gt_i32_e64 s0, s7, v10
	v_cmp_le_i32_e64 s1, s7, v10
	s_cselect_b32 s29, -1, 0
	v_cmp_lt_i32_e64 s2, v0, v11
	s_cmp_lg_u32 s24, 0
	s_mov_b32 s35, 0
	s_mul_i32 s23, s7, s7
	s_cselect_b32 s30, -1, 0
	v_mul_lo_u32 v14, s7, v1
	v_ashrrev_i32_e32 v1, 31, v0
	s_add_co_i32 s25, s25, 1
	s_add_co_i32 s31, s7, 1
	s_lshl_b32 s33, s7, 5
	s_add_co_i32 s34, s7, -1
	v_lshl_add_u64 v[6:7], v[0:1], 2, s[10:11]
	s_mov_b32 s36, 0
                                        ; implicit-def: $sgpr37
                                        ; implicit-def: $sgpr38
	s_delay_alu instid0(VALU_DEP_3)
	v_add_nc_u32_e32 v1, 1, v14
	s_branch .LBB1_12
.LBB1_10:                               ;   in Loop: Header=BB1_12 Depth=1
	s_or_b32 exec_lo, exec_lo, s4
	s_delay_alu instid0(SALU_CYCLE_1) | instskip(SKIP_1) | instid1(SALU_CYCLE_1)
	s_and_not1_b32 s4, s38, exec_lo
	s_and_b32 s35, s35, exec_lo
	s_or_b32 s38, s4, s35
.LBB1_11:                               ;   in Loop: Header=BB1_12 Depth=1
	s_or_b32 exec_lo, exec_lo, s39
	v_dual_add_nc_u32 v13, 1, v13 :: v_dual_add_nc_u32 v14, s23, v14
	s_xor_b32 s3, s3, -1
	v_add_nc_u32_e32 v1, s23, v1
	s_mov_b32 s35, s38
	s_delay_alu instid0(VALU_DEP_2) | instskip(SKIP_1) | instid1(SALU_CYCLE_1)
	v_cmp_ge_i32_e32 vcc_lo, v13, v12
	s_or_b32 s3, s3, vcc_lo
	s_and_b32 s3, exec_lo, s3
	s_delay_alu instid0(SALU_CYCLE_1) | instskip(SKIP_2) | instid1(SALU_CYCLE_1)
	s_or_b32 s36, s3, s36
	s_and_not1_b32 s3, s37, exec_lo
	s_and_b32 s4, s38, exec_lo
	s_or_b32 s37, s3, s4
	s_and_not1_b32 exec_lo, exec_lo, s36
	s_cbranch_execz .LBB1_73
.LBB1_12:                               ; =>This Loop Header: Depth=1
                                        ;     Child Loop BB1_15 Depth 2
                                        ;     Child Loop BB1_20 Depth 2
                                        ;       Child Loop BB1_25 Depth 3
                                        ;         Child Loop BB1_34 Depth 4
                                        ;     Child Loop BB1_47 Depth 2
                                        ;       Child Loop BB1_52 Depth 3
                                        ;       Child Loop BB1_59 Depth 3
                                        ;         Child Loop BB1_61 Depth 4
                                        ;           Child Loop BB1_63 Depth 5
	global_load_b32 v8, v13, s[10:11] scale_offset
	s_or_b32 s38, s38, exec_lo
	s_wait_loadcnt 0x0
	v_subrev_nc_u32_e32 v8, s6, v8
	global_load_b32 v15, v8, s[14:15] scale_offset
	s_wait_loadcnt 0x0
	v_cmp_ne_u32_e64 s3, -1, v15
	s_wait_xcnt 0x0
	s_and_saveexec_b32 s39, s3
	s_cbranch_execz .LBB1_11
; %bb.13:                               ;   in Loop: Header=BB1_12 Depth=1
	v_ashrrev_i32_e32 v9, 31, v8
	s_mov_b32 s4, exec_lo
	s_delay_alu instid0(VALU_DEP_1) | instskip(SKIP_1) | instid1(VALU_DEP_1)
	v_lshlrev_b64_e32 v[8:9], 2, v[8:9]
	s_wait_dscnt 0x0
	v_add_nc_u64_e32 v[18:19], s[8:9], v[8:9]
	v_add_nc_u64_e32 v[8:9], s[20:21], v[8:9]
	global_load_b32 v16, v[18:19], off offset:4
	global_load_b32 v17, v[8:9], off scope:SCOPE_DEV
	s_wait_loadcnt 0x0
	s_wait_xcnt 0x0
	v_cmpx_eq_u32_e32 0, v17
	s_cbranch_execz .LBB1_16
; %bb.14:                               ;   in Loop: Header=BB1_12 Depth=1
	s_mov_b32 s40, 0
.LBB1_15:                               ;   Parent Loop BB1_12 Depth=1
                                        ; =>  This Inner Loop Header: Depth=2
	global_load_b32 v17, v[8:9], off scope:SCOPE_DEV
	s_wait_loadcnt 0x0
	v_cmp_ne_u32_e32 vcc_lo, 0, v17
	s_or_b32 s40, vcc_lo, s40
	s_wait_xcnt 0x0
	s_and_not1_b32 exec_lo, exec_lo, s40
	s_cbranch_execnz .LBB1_15
.LBB1_16:                               ;   in Loop: Header=BB1_12 Depth=1
	s_or_b32 exec_lo, exec_lo, s4
	v_mul_lo_u32 v8, v13, s7
	s_and_not1_b32 vcc_lo, exec_lo, s29
	s_wait_dscnt 0x0
	global_inv scope:SCOPE_DEV
	s_cbranch_vccnz .LBB1_43
; %bb.17:                               ;   in Loop: Header=BB1_12 Depth=1
	v_mul_lo_u32 v9, v15, s7
	v_mad_u32 v17, s23, v15, 1
	v_dual_mov_b32 v18, 0 :: v_dual_mov_b32 v19, v1
	s_mov_b32 s40, 0
	s_mov_b32 s41, s34
	s_branch .LBB1_20
.LBB1_18:                               ;   in Loop: Header=BB1_20 Depth=2
	s_or_b32 exec_lo, exec_lo, s43
	v_mov_b32_e32 v18, v20
.LBB1_19:                               ;   in Loop: Header=BB1_20 Depth=2
	s_or_b32 exec_lo, exec_lo, s42
	s_delay_alu instid0(VALU_DEP_1) | instskip(SKIP_3) | instid1(SALU_CYCLE_1)
	v_cmp_eq_u32_e32 vcc_lo, s7, v18
	v_dual_add_nc_u32 v17, s31, v17 :: v_dual_add_nc_u32 v19, 1, v19
	s_add_co_i32 s41, s41, -1
	s_or_b32 s40, vcc_lo, s40
	s_and_not1_b32 exec_lo, exec_lo, s40
	s_cbranch_execz .LBB1_42
.LBB1_20:                               ;   Parent Loop BB1_12 Depth=1
                                        ; =>  This Loop Header: Depth=2
                                        ;       Child Loop BB1_25 Depth 3
                                        ;         Child Loop BB1_34 Depth 4
	s_delay_alu instid0(VALU_DEP_1) | instskip(SKIP_1) | instid1(SALU_CYCLE_1)
	v_add_nc_u32_e32 v20, 1, v18
	s_and_saveexec_b32 s4, s1
	s_xor_b32 s4, exec_lo, s4
; %bb.21:                               ;   in Loop: Header=BB1_20 Depth=2
	v_add_nc_u32_e32 v18, 1, v18
                                        ; implicit-def: $vgpr20
; %bb.22:                               ;   in Loop: Header=BB1_20 Depth=2
	s_and_not1_saveexec_b32 s42, s4
	s_cbranch_execz .LBB1_19
; %bb.23:                               ;   in Loop: Header=BB1_20 Depth=2
	s_delay_alu instid0(VALU_DEP_1) | instskip(SKIP_2) | instid1(VALU_DEP_3)
	v_dual_add_nc_u32 v21, v18, v9 :: v_dual_add_nc_u32 v22, v18, v8
	v_cmp_gt_i32_e64 s4, s7, v20
	v_dual_mov_b32 v23, v19 :: v_dual_mov_b32 v24, v10
	v_mad_u32 v21, v21, s7, v18
	s_delay_alu instid0(VALU_DEP_4)
	v_mul_lo_u32 v22, v22, s7
	s_mov_b32 s43, 0
	global_load_b32 v21, v21, s[12:13] scale_offset
	s_branch .LBB1_25
.LBB1_24:                               ;   in Loop: Header=BB1_25 Depth=3
	s_wait_xcnt 0x0
	s_or_b32 exec_lo, exec_lo, s44
	v_dual_add_nc_u32 v24, 32, v24 :: v_dual_add_nc_u32 v23, s33, v23
	s_delay_alu instid0(VALU_DEP_1) | instskip(SKIP_1) | instid1(SALU_CYCLE_1)
	v_cmp_le_i32_e32 vcc_lo, s7, v24
	s_or_b32 s43, vcc_lo, s43
	s_and_not1_b32 exec_lo, exec_lo, s43
	s_cbranch_execz .LBB1_18
.LBB1_25:                               ;   Parent Loop BB1_12 Depth=1
                                        ;     Parent Loop BB1_20 Depth=2
                                        ; =>    This Loop Header: Depth=3
                                        ;         Child Loop BB1_34 Depth 4
	v_add_nc_u32_e32 v26, v24, v22
	s_and_b32 vcc_lo, exec_lo, s30
	s_cbranch_vccz .LBB1_40
; %bb.26:                               ;   in Loop: Header=BB1_25 Depth=3
	v_add_nc_u32_e32 v25, v24, v22
	v_add_nc_u32_e32 v28, v24, v8
	s_delay_alu instid0(VALU_DEP_1)
	v_mad_u32 v27, v28, s7, v18
	s_cbranch_execnz .LBB1_28
.LBB1_27:                               ;   in Loop: Header=BB1_25 Depth=3
	v_mad_u32 v25, v28, s7, v18
.LBB1_28:                               ;   in Loop: Header=BB1_25 Depth=3
	global_load_b32 v25, v25, s[12:13] scale_offset
	s_and_b32 vcc_lo, exec_lo, s30
	s_cbranch_vccz .LBB1_41
; %bb.29:                               ;   in Loop: Header=BB1_25 Depth=3
	s_cbranch_execnz .LBB1_31
.LBB1_30:                               ;   in Loop: Header=BB1_25 Depth=3
	v_mov_b32_e32 v26, v27
.LBB1_31:                               ;   in Loop: Header=BB1_25 Depth=3
	s_wait_loadcnt 0x0
	v_div_scale_f32 v27, null, v21, v21, v25
	s_delay_alu instid0(VALU_DEP_1) | instskip(SKIP_1) | instid1(TRANS32_DEP_1)
	v_rcp_f32_e32 v28, v27
	v_nop
	v_fma_f32 v29, -v27, v28, 1.0
	s_delay_alu instid0(VALU_DEP_1) | instskip(SKIP_1) | instid1(VALU_DEP_1)
	v_fmac_f32_e32 v28, v29, v28
	v_div_scale_f32 v29, vcc_lo, v25, v21, v25
	v_mul_f32_e32 v30, v29, v28
	s_delay_alu instid0(VALU_DEP_1) | instskip(NEXT) | instid1(VALU_DEP_1)
	v_fma_f32 v31, -v27, v30, v29
	v_fmac_f32_e32 v30, v31, v28
	s_delay_alu instid0(VALU_DEP_1) | instskip(NEXT) | instid1(VALU_DEP_1)
	v_fma_f32 v27, -v27, v30, v29
	v_div_fmas_f32 v27, v27, v28, v30
	s_wait_xcnt 0x0
	s_delay_alu instid0(VALU_DEP_1)
	v_div_fixup_f32 v25, v27, v21, v25
	global_store_b32 v26, v25, s[12:13] scale_offset
	s_wait_xcnt 0x0
	s_and_saveexec_b32 s44, s4
	s_cbranch_execz .LBB1_24
; %bb.32:                               ;   in Loop: Header=BB1_25 Depth=3
	v_dual_mov_b32 v26, v23 :: v_dual_mov_b32 v27, v17
	v_mov_b32_e32 v28, v20
	s_mov_b32 s45, s41
	s_branch .LBB1_34
.LBB1_33:                               ;   in Loop: Header=BB1_34 Depth=4
	s_wait_loadcnt 0x0
	s_wait_xcnt 0x1
	v_dual_fma_f32 v29, -v25, v29, v32 :: v_dual_add_nc_u32 v28, 1, v28
	v_dual_add_nc_u32 v27, 1, v27 :: v_dual_add_nc_u32 v26, 1, v26
	s_add_co_i32 s45, s45, -1
	global_store_b32 v31, v29, s[12:13] scale_offset
	s_cmp_eq_u32 s45, 0
	s_cbranch_scc1 .LBB1_24
.LBB1_34:                               ;   Parent Loop BB1_12 Depth=1
                                        ;     Parent Loop BB1_20 Depth=2
                                        ;       Parent Loop BB1_25 Depth=3
                                        ; =>      This Inner Loop Header: Depth=4
	s_wait_xcnt 0x0
	v_mov_b32_e32 v29, v27
	s_and_not1_b32 vcc_lo, exec_lo, s30
	s_cbranch_vccnz .LBB1_36
; %bb.35:                               ;   in Loop: Header=BB1_34 Depth=4
	v_add_nc_u32_e32 v29, v28, v9
	s_delay_alu instid0(VALU_DEP_1)
	v_mad_u32 v29, v29, s7, v18
.LBB1_36:                               ;   in Loop: Header=BB1_34 Depth=4
	global_load_b32 v29, v29, s[12:13] scale_offset
	v_dual_mov_b32 v32, v26 :: v_dual_add_nc_u32 v31, v28, v8
	s_and_not1_b32 vcc_lo, exec_lo, s30
	s_delay_alu instid0(VALU_DEP_1)
	v_mad_u32 v30, v31, s7, v24
	s_cbranch_vccnz .LBB1_38
; %bb.37:                               ;   in Loop: Header=BB1_34 Depth=4
	v_mad_u32 v32, v31, s7, v24
.LBB1_38:                               ;   in Loop: Header=BB1_34 Depth=4
	global_load_b32 v32, v32, s[12:13] scale_offset
	v_mov_b32_e32 v31, v26
	s_and_not1_b32 vcc_lo, exec_lo, s30
	s_cbranch_vccnz .LBB1_33
; %bb.39:                               ;   in Loop: Header=BB1_34 Depth=4
	v_mov_b32_e32 v31, v30
	s_branch .LBB1_33
.LBB1_40:                               ;   in Loop: Header=BB1_25 Depth=3
                                        ; implicit-def: $vgpr25
	v_add_nc_u32_e32 v28, v24, v8
	s_delay_alu instid0(VALU_DEP_1)
	v_mad_u32 v27, v28, s7, v18
	s_branch .LBB1_27
.LBB1_41:                               ;   in Loop: Header=BB1_25 Depth=3
                                        ; implicit-def: $vgpr26
	s_branch .LBB1_30
.LBB1_42:                               ;   in Loop: Header=BB1_12 Depth=1
	s_or_b32 exec_lo, exec_lo, s40
.LBB1_43:                               ;   in Loop: Header=BB1_12 Depth=1
	v_subrev_nc_u32_e32 v9, s6, v16
	v_add_nc_u32_e32 v15, 1, v15
	s_mov_b32 s4, exec_lo
	s_delay_alu instid0(VALU_DEP_1)
	v_cmpx_lt_i32_e64 v15, v9
	s_cbranch_execz .LBB1_10
; %bb.44:                               ;   in Loop: Header=BB1_12 Depth=1
	v_mul_lo_u32 v16, s23, v15
	s_mov_b32 s40, 0
	s_branch .LBB1_47
.LBB1_45:                               ;   in Loop: Header=BB1_47 Depth=2
	s_or_b32 exec_lo, exec_lo, s41
.LBB1_46:                               ;   in Loop: Header=BB1_47 Depth=2
	v_dual_add_nc_u32 v15, 1, v15 :: v_dual_add_nc_u32 v16, s23, v16
	s_delay_alu instid0(VALU_DEP_1) | instskip(SKIP_1) | instid1(SALU_CYCLE_1)
	v_cmp_ge_i32_e32 vcc_lo, v15, v9
	s_or_b32 s40, vcc_lo, s40
	s_and_not1_b32 exec_lo, exec_lo, s40
	s_cbranch_execz .LBB1_10
.LBB1_47:                               ;   Parent Loop BB1_12 Depth=1
                                        ; =>  This Loop Header: Depth=2
                                        ;       Child Loop BB1_52 Depth 3
                                        ;       Child Loop BB1_59 Depth 3
                                        ;         Child Loop BB1_61 Depth 4
                                        ;           Child Loop BB1_63 Depth 5
	global_load_b32 v17, v15, s[10:11] scale_offset
	s_wait_dscnt 0x0
	v_mov_b32_e32 v18, s25
	s_wait_xcnt 0x0
	s_and_saveexec_b32 s41, s2
	s_cbranch_execz .LBB1_49
; %bb.48:                               ;   in Loop: Header=BB1_47 Depth=2
	global_load_b32 v18, v[6:7], off
	s_wait_loadcnt 0x0
	v_subrev_nc_u32_e32 v18, s6, v18
.LBB1_49:                               ;   in Loop: Header=BB1_47 Depth=2
	s_wait_xcnt 0x0
	s_or_b32 exec_lo, exec_lo, s41
	s_wait_loadcnt 0x0
	v_subrev_nc_u32_e32 v17, s6, v17
	v_mov_b32_e32 v19, v0
	s_mov_b32 s41, exec_lo
	s_delay_alu instid0(VALU_DEP_2)
	v_cmpx_lt_i32_e64 v18, v17
	s_cbranch_execz .LBB1_55
; %bb.50:                               ;   in Loop: Header=BB1_47 Depth=2
	v_mov_b32_e32 v20, v0
	s_mov_b32 s42, 0
	s_branch .LBB1_52
.LBB1_51:                               ;   in Loop: Header=BB1_52 Depth=3
	s_wait_xcnt 0x0
	s_or_b32 exec_lo, exec_lo, s43
	s_delay_alu instid0(VALU_DEP_1) | instskip(SKIP_2) | instid1(SALU_CYCLE_1)
	v_cmp_ge_i32_e32 vcc_lo, v18, v17
	v_mov_b32_e32 v20, v19
	s_or_b32 s42, vcc_lo, s42
	s_and_not1_b32 exec_lo, exec_lo, s42
	s_cbranch_execz .LBB1_54
.LBB1_52:                               ;   Parent Loop BB1_12 Depth=1
                                        ;     Parent Loop BB1_47 Depth=2
                                        ; =>    This Inner Loop Header: Depth=3
	s_delay_alu instid0(VALU_DEP_1) | instskip(SKIP_1) | instid1(VALU_DEP_1)
	v_dual_mov_b32 v18, s25 :: v_dual_add_nc_u32 v19, 32, v20
	s_mov_b32 s43, exec_lo
	v_cmpx_lt_i32_e64 v19, v11
	s_cbranch_execz .LBB1_51
; %bb.53:                               ;   in Loop: Header=BB1_52 Depth=3
	global_load_b32 v18, v20, s[10:11] offset:128 scale_offset
	s_wait_loadcnt 0x0
	v_subrev_nc_u32_e32 v18, s6, v18
	s_branch .LBB1_51
.LBB1_54:                               ;   in Loop: Header=BB1_47 Depth=2
	s_or_b32 exec_lo, exec_lo, s42
.LBB1_55:                               ;   in Loop: Header=BB1_47 Depth=2
	s_delay_alu instid0(SALU_CYCLE_1)
	s_or_b32 exec_lo, exec_lo, s41
	v_cmp_eq_u32_e32 vcc_lo, v18, v17
	s_cbranch_vccz .LBB1_46
; %bb.56:                               ;   in Loop: Header=BB1_47 Depth=2
	s_ctz_i32_b32 s41, vcc_lo
	s_delay_alu instid0(SALU_CYCLE_1) | instskip(NEXT) | instid1(SALU_CYCLE_1)
	s_lshl_b32 s41, s41, 2
	v_mov_b32_e32 v17, s41
	ds_bpermute_b32 v18, v17, v19
	s_and_saveexec_b32 s41, s0
	s_cbranch_execz .LBB1_45
; %bb.57:                               ;   in Loop: Header=BB1_47 Depth=2
	v_mul_lo_u32 v17, v15, s7
	s_wait_dscnt 0x0
	v_mul_lo_u32 v18, v18, s7
	v_dual_mov_b32 v19, v14 :: v_dual_mov_b32 v20, v10
	s_mov_b32 s42, 0
	s_branch .LBB1_59
.LBB1_58:                               ;   in Loop: Header=BB1_59 Depth=3
	v_dual_add_nc_u32 v20, 32, v20 :: v_dual_add_nc_u32 v19, s33, v19
	s_delay_alu instid0(VALU_DEP_1)
	v_cmp_le_i32_e32 vcc_lo, s7, v20
	s_or_b32 s42, vcc_lo, s42
	s_wait_xcnt 0x0
	s_and_not1_b32 exec_lo, exec_lo, s42
	s_cbranch_execz .LBB1_45
.LBB1_59:                               ;   Parent Loop BB1_12 Depth=1
                                        ;     Parent Loop BB1_47 Depth=2
                                        ; =>    This Loop Header: Depth=3
                                        ;         Child Loop BB1_61 Depth 4
                                        ;           Child Loop BB1_63 Depth 5
	s_delay_alu instid0(VALU_DEP_1) | instskip(SKIP_2) | instid1(VALU_DEP_2)
	v_add_nc_u32_e32 v21, v20, v18
	v_mov_b32_e32 v22, v16
	s_mov_b32 s43, 0
	v_mul_lo_u32 v21, v21, s7
	s_branch .LBB1_61
.LBB1_60:                               ;   in Loop: Header=BB1_61 Depth=4
	global_load_b32 v25, v24, s[12:13] scale_offset
	s_add_co_i32 s43, s43, 1
	v_add_nc_u32_e32 v22, 1, v22
	s_cmp_eq_u32 s43, s7
	s_wait_loadcnt 0x0
	v_sub_f32_e32 v23, v25, v23
	global_store_b32 v24, v23, s[12:13] scale_offset
	s_cbranch_scc1 .LBB1_58
.LBB1_61:                               ;   Parent Loop BB1_12 Depth=1
                                        ;     Parent Loop BB1_47 Depth=2
                                        ;       Parent Loop BB1_59 Depth=3
                                        ; =>      This Loop Header: Depth=4
                                        ;           Child Loop BB1_63 Depth 5
	s_wait_xcnt 0x0
	v_dual_add_nc_u32 v23, s43, v17 :: v_dual_mov_b32 v25, v22
	s_mov_b32 s44, 0
	s_delay_alu instid0(VALU_DEP_1)
	v_mul_lo_u32 v24, v23, s7
	v_mov_b32_e32 v23, 0
	s_branch .LBB1_63
.LBB1_62:                               ;   in Loop: Header=BB1_63 Depth=5
	global_load_b32 v27, v27, s[12:13] scale_offset
	s_add_co_i32 s44, s44, 1
	v_add_nc_u32_e32 v25, s7, v25
	s_cmp_eq_u32 s7, s44
	s_wait_loadcnt 0x0
	v_fmac_f32_e32 v23, v26, v27
	s_cbranch_scc1 .LBB1_69
.LBB1_63:                               ;   Parent Loop BB1_12 Depth=1
                                        ;     Parent Loop BB1_47 Depth=2
                                        ;       Parent Loop BB1_59 Depth=3
                                        ;         Parent Loop BB1_61 Depth=4
                                        ; =>        This Inner Loop Header: Depth=5
	s_and_b32 vcc_lo, exec_lo, s30
	s_cbranch_vccz .LBB1_68
; %bb.64:                               ;   in Loop: Header=BB1_63 Depth=5
	s_wait_xcnt 0x1
	v_add_nc_u32_e32 v26, s44, v8
	s_delay_alu instid0(VALU_DEP_1)
	v_mad_u32 v26, v26, s7, v20
	s_cbranch_execnz .LBB1_66
.LBB1_65:                               ;   in Loop: Header=BB1_63 Depth=5
	s_wait_xcnt 0x1
	v_add_nc_u32_e32 v26, s44, v19
.LBB1_66:                               ;   in Loop: Header=BB1_63 Depth=5
	global_load_b32 v26, v26, s[12:13] scale_offset
	s_wait_xcnt 0x1
	v_mov_b32_e32 v27, v25
	s_and_not1_b32 vcc_lo, exec_lo, s30
	s_cbranch_vccnz .LBB1_62
; %bb.67:                               ;   in Loop: Header=BB1_63 Depth=5
	v_add_nc_u32_e32 v27, s44, v24
	s_branch .LBB1_62
.LBB1_68:                               ;   in Loop: Header=BB1_63 Depth=5
                                        ; implicit-def: $vgpr26
	s_branch .LBB1_65
.LBB1_69:                               ;   in Loop: Header=BB1_61 Depth=4
	s_and_b32 vcc_lo, exec_lo, s30
	s_cbranch_vccz .LBB1_71
; %bb.70:                               ;   in Loop: Header=BB1_61 Depth=4
	v_add_nc_u32_e32 v24, s43, v18
	s_delay_alu instid0(VALU_DEP_1)
	v_mad_u32 v24, v24, s7, v20
	s_cbranch_execnz .LBB1_60
	s_branch .LBB1_72
.LBB1_71:                               ;   in Loop: Header=BB1_61 Depth=4
                                        ; implicit-def: $vgpr24
.LBB1_72:                               ;   in Loop: Header=BB1_61 Depth=4
	v_add_nc_u32_e32 v24, s43, v21
	s_branch .LBB1_60
.LBB1_73:
	s_or_b32 exec_lo, exec_lo, s36
	s_delay_alu instid0(SALU_CYCLE_1)
	s_and_b32 s2, s37, exec_lo
.LBB1_74:
	s_or_b32 exec_lo, exec_lo, s22
	global_load_b32 v0, v12, s[10:11] scale_offset
	s_wait_kmcnt 0x0
	s_cmp_gt_i32 s7, 0
	s_mov_b32 s8, 0
	s_cselect_b32 s3, -1, 0
	s_wait_loadcnt 0x0
	v_subrev_nc_u32_e32 v0, s6, v0
	s_delay_alu instid0(VALU_DEP_1)
	v_cmp_eq_u32_e32 vcc_lo, v0, v2
	s_and_b32 s0, s3, vcc_lo
	s_wait_xcnt 0x0
	s_and_saveexec_b32 s4, s0
	s_cbranch_execz .LBB1_108
; %bb.75:
	v_cvt_f64_f32_e32 v[0:1], s28
	v_mul_lo_u32 v6, v12, s7
	s_cmp_eq_u64 s[16:17], 8
	s_mul_i32 s0, s7, s7
	s_cselect_b32 vcc_lo, -1, 0
	s_cmp_lg_u32 s24, 0
	v_mad_u32 v7, v12, s0, 1
	s_cselect_b32 s9, -1, 0
	s_add_co_i32 s10, s7, 1
	v_cmp_eq_u32_e64 s0, 0, v10
	s_lshl_b32 s11, s7, 5
	v_dual_mov_b32 v9, 0 :: v_dual_add_nc_u32 v8, v6, v10
	s_add_co_i32 s14, s7, -1
	s_mov_b32 s16, s2
                                        ; implicit-def: $sgpr15
	s_delay_alu instid0(VALU_DEP_1)
	v_mad_u32 v8, s7, v8, s10
	s_wait_dscnt 0x0
	v_dual_cndmask_b32 v1, v1, v5 :: v_dual_cndmask_b32 v0, v0, v4
	s_branch .LBB1_77
.LBB1_76:                               ;   in Loop: Header=BB1_77 Depth=1
	s_or_b32 exec_lo, exec_lo, s1
	s_delay_alu instid0(VALU_DEP_1)
	v_cmp_eq_u32_e32 vcc_lo, s7, v4
	s_add_co_i32 s14, s14, -1
	v_dual_add_nc_u32 v7, s10, v7 :: v_dual_add_nc_u32 v8, s10, v8
	v_mov_b32_e32 v9, v4
	s_or_b32 s8, vcc_lo, s8
	s_and_not1_b32 s1, s15, exec_lo
	s_and_b32 s15, s16, exec_lo
	s_delay_alu instid0(SALU_CYCLE_1)
	s_or_b32 s15, s1, s15
	s_and_not1_b32 exec_lo, exec_lo, s8
	s_cbranch_execz .LBB1_107
.LBB1_77:                               ; =>This Loop Header: Depth=1
                                        ;     Child Loop BB1_87 Depth 2
                                        ;       Child Loop BB1_96 Depth 3
	v_add_nc_u32_e32 v4, v9, v6
	s_mov_b32 s17, 0
	s_and_not1_b32 vcc_lo, exec_lo, s26
	s_mov_b32 s1, 0
	s_mov_b32 s22, -1
	v_mul_lo_u32 v13, v4, s7
                                        ; implicit-def: $vgpr15
	s_delay_alu instid0(VALU_DEP_1)
	v_add_nc_u32_e32 v4, v13, v9
	global_load_b32 v14, v4, s[12:13] scale_offset
	s_cbranch_vccnz .LBB1_81
; %bb.78:                               ;   in Loop: Header=BB1_77 Depth=1
	s_wait_loadcnt 0x0
	v_cmp_gt_f32_e32 vcc_lo, 0, v14
	v_cndmask_b32_e64 v5, v14, -v14, vcc_lo
	s_delay_alu instid0(VALU_DEP_1) | instskip(NEXT) | instid1(VALU_DEP_1)
	v_cvt_f64_f32_e32 v[16:17], v5
	v_cmp_ge_f64_e32 vcc_lo, v[0:1], v[16:17]
	v_cndmask_b32_e64 v15, v14, s27, vcc_lo
	s_wait_xcnt 0x0
	s_and_saveexec_b32 s1, s0
	s_cbranch_execz .LBB1_80
; %bb.79:                               ;   in Loop: Header=BB1_77 Depth=1
	v_ashrrev_i32_e32 v5, 31, v4
	s_delay_alu instid0(VALU_DEP_1)
	v_lshl_add_u64 v[4:5], v[4:5], 2, s[12:13]
	global_store_b32 v[4:5], v15, off
.LBB1_80:                               ;   in Loop: Header=BB1_77 Depth=1
	s_wait_xcnt 0x0
	s_or_b32 exec_lo, exec_lo, s1
	s_mov_b32 s22, 0
	s_mov_b32 s1, -1
.LBB1_81:                               ;   in Loop: Header=BB1_77 Depth=1
	s_and_not1_b32 vcc_lo, exec_lo, s22
	s_cbranch_vccnz .LBB1_83
; %bb.82:                               ;   in Loop: Header=BB1_77 Depth=1
	s_wait_loadcnt 0x0
	v_cmp_neq_f32_e32 vcc_lo, 0, v14
	s_and_not1_b32 s1, s1, exec_lo
	s_mov_b32 s17, -1
	s_and_b32 s22, vcc_lo, exec_lo
	s_delay_alu instid0(SALU_CYCLE_1) | instskip(SKIP_2) | instid1(SALU_CYCLE_1)
	s_or_b32 s1, s1, s22
                                        ; implicit-def: $vgpr4
	s_wait_xcnt 0x0
	s_and_saveexec_b32 s22, s1
	s_xor_b32 s22, exec_lo, s22
	s_cbranch_execnz .LBB1_84
	s_branch .LBB1_105
.LBB1_83:                               ;   in Loop: Header=BB1_77 Depth=1
	s_wait_loadcnt 0x0
	v_mov_b32_e32 v14, v15
                                        ; implicit-def: $vgpr4
	s_wait_xcnt 0x0
	s_and_saveexec_b32 s22, s1
	s_delay_alu instid0(SALU_CYCLE_1)
	s_xor_b32 s22, exec_lo, s22
	s_cbranch_execz .LBB1_105
.LBB1_84:                               ;   in Loop: Header=BB1_77 Depth=1
	v_add_nc_u32_e32 v4, 1, v9
	s_mov_b32 s23, exec_lo
	s_delay_alu instid0(VALU_DEP_1) | instskip(NEXT) | instid1(VALU_DEP_1)
	v_add_nc_u32_e32 v5, v4, v10
	v_cmpx_gt_i32_e64 s7, v5
	s_cbranch_execz .LBB1_104
; %bb.85:                               ;   in Loop: Header=BB1_77 Depth=1
	v_cmp_gt_i32_e64 s1, s7, v4
	v_mov_b32_e32 v15, v8
	s_mov_b32 s25, 0
	s_branch .LBB1_87
.LBB1_86:                               ;   in Loop: Header=BB1_87 Depth=2
	s_wait_xcnt 0x0
	s_or_b32 exec_lo, exec_lo, s28
	v_dual_add_nc_u32 v5, 32, v5 :: v_dual_add_nc_u32 v15, s11, v15
	s_delay_alu instid0(VALU_DEP_1) | instskip(SKIP_1) | instid1(SALU_CYCLE_1)
	v_cmp_le_i32_e32 vcc_lo, s7, v5
	s_or_b32 s25, vcc_lo, s25
	s_and_not1_b32 exec_lo, exec_lo, s25
	s_cbranch_execz .LBB1_104
.LBB1_87:                               ;   Parent Loop BB1_77 Depth=1
                                        ; =>  This Loop Header: Depth=2
                                        ;       Child Loop BB1_96 Depth 3
	v_add_nc_u32_e32 v17, v5, v13
	s_and_b32 vcc_lo, exec_lo, s9
	s_cbranch_vccz .LBB1_102
; %bb.88:                               ;   in Loop: Header=BB1_87 Depth=2
	v_add_nc_u32_e32 v16, v5, v13
	s_cbranch_execnz .LBB1_90
.LBB1_89:                               ;   in Loop: Header=BB1_87 Depth=2
	v_add_nc_u32_e32 v16, v5, v6
	s_delay_alu instid0(VALU_DEP_1)
	v_mad_u32 v16, v16, s7, v9
.LBB1_90:                               ;   in Loop: Header=BB1_87 Depth=2
	global_load_b32 v16, v16, s[12:13] scale_offset
	s_and_b32 vcc_lo, exec_lo, s9
	s_cbranch_vccz .LBB1_103
; %bb.91:                               ;   in Loop: Header=BB1_87 Depth=2
	s_cbranch_execnz .LBB1_93
.LBB1_92:                               ;   in Loop: Header=BB1_87 Depth=2
	v_add_nc_u32_e32 v17, v5, v6
	s_delay_alu instid0(VALU_DEP_1)
	v_mad_u32 v17, v17, s7, v9
.LBB1_93:                               ;   in Loop: Header=BB1_87 Depth=2
	s_wait_loadcnt 0x0
	v_div_scale_f32 v18, null, v14, v14, v16
	s_delay_alu instid0(VALU_DEP_1) | instskip(SKIP_1) | instid1(TRANS32_DEP_1)
	v_rcp_f32_e32 v19, v18
	v_nop
	v_fma_f32 v20, -v18, v19, 1.0
	s_delay_alu instid0(VALU_DEP_1) | instskip(SKIP_1) | instid1(VALU_DEP_1)
	v_fmac_f32_e32 v19, v20, v19
	v_div_scale_f32 v20, vcc_lo, v16, v14, v16
	v_mul_f32_e32 v21, v20, v19
	s_delay_alu instid0(VALU_DEP_1) | instskip(NEXT) | instid1(VALU_DEP_1)
	v_fma_f32 v22, -v18, v21, v20
	v_fmac_f32_e32 v21, v22, v19
	s_delay_alu instid0(VALU_DEP_1) | instskip(NEXT) | instid1(VALU_DEP_1)
	v_fma_f32 v18, -v18, v21, v20
	v_div_fmas_f32 v18, v18, v19, v21
	s_wait_xcnt 0x0
	s_delay_alu instid0(VALU_DEP_1)
	v_div_fixup_f32 v16, v18, v14, v16
	global_store_b32 v17, v16, s[12:13] scale_offset
	s_wait_xcnt 0x0
	s_and_saveexec_b32 s28, s1
	s_cbranch_execz .LBB1_86
; %bb.94:                               ;   in Loop: Header=BB1_87 Depth=2
	v_dual_mov_b32 v17, v15 :: v_dual_mov_b32 v18, v7
	v_mov_b32_e32 v19, v4
	s_mov_b32 s29, s14
	s_branch .LBB1_96
.LBB1_95:                               ;   in Loop: Header=BB1_96 Depth=3
	s_wait_loadcnt 0x0
	s_wait_xcnt 0x1
	v_dual_fma_f32 v20, -v16, v20, v23 :: v_dual_add_nc_u32 v19, 1, v19
	v_dual_add_nc_u32 v18, 1, v18 :: v_dual_add_nc_u32 v17, 1, v17
	s_add_co_i32 s29, s29, -1
	global_store_b32 v21, v20, s[12:13] scale_offset
	s_cmp_eq_u32 s29, 0
	s_cbranch_scc1 .LBB1_86
.LBB1_96:                               ;   Parent Loop BB1_77 Depth=1
                                        ;     Parent Loop BB1_87 Depth=2
                                        ; =>    This Inner Loop Header: Depth=3
	s_wait_xcnt 0x0
	s_delay_alu instid0(VALU_DEP_1)
	v_dual_mov_b32 v20, v18 :: v_dual_add_nc_u32 v21, v19, v6
	s_and_not1_b32 vcc_lo, exec_lo, s9
	s_cbranch_vccnz .LBB1_98
; %bb.97:                               ;   in Loop: Header=BB1_96 Depth=3
	s_delay_alu instid0(VALU_DEP_1)
	v_mad_u32 v20, v21, s7, v9
.LBB1_98:                               ;   in Loop: Header=BB1_96 Depth=3
	global_load_b32 v20, v20, s[12:13] scale_offset
	v_mad_u32 v22, v21, s7, v5
	v_mov_b32_e32 v23, v17
	s_and_not1_b32 vcc_lo, exec_lo, s9
	s_cbranch_vccnz .LBB1_100
; %bb.99:                               ;   in Loop: Header=BB1_96 Depth=3
	v_mad_u32 v23, v21, s7, v5
.LBB1_100:                              ;   in Loop: Header=BB1_96 Depth=3
	global_load_b32 v23, v23, s[12:13] scale_offset
	v_mov_b32_e32 v21, v17
	s_and_not1_b32 vcc_lo, exec_lo, s9
	s_cbranch_vccnz .LBB1_95
; %bb.101:                              ;   in Loop: Header=BB1_96 Depth=3
	v_mov_b32_e32 v21, v22
	s_branch .LBB1_95
.LBB1_102:                              ;   in Loop: Header=BB1_87 Depth=2
                                        ; implicit-def: $vgpr16
	s_branch .LBB1_89
.LBB1_103:                              ;   in Loop: Header=BB1_87 Depth=2
                                        ; implicit-def: $vgpr17
	s_branch .LBB1_92
.LBB1_104:                              ;   in Loop: Header=BB1_77 Depth=1
	s_or_b32 exec_lo, exec_lo, s23
	s_delay_alu instid0(SALU_CYCLE_1)
	s_and_not1_b32 s17, s17, exec_lo
.LBB1_105:                              ;   in Loop: Header=BB1_77 Depth=1
	s_or_b32 exec_lo, exec_lo, s22
	s_delay_alu instid0(SALU_CYCLE_1) | instskip(SKIP_1) | instid1(SALU_CYCLE_1)
	s_and_not1_b32 s1, s16, exec_lo
	s_and_b32 s16, s16, exec_lo
	s_or_b32 s16, s1, s16
	s_and_saveexec_b32 s1, s17
	s_cbranch_execz .LBB1_76
; %bb.106:                              ;   in Loop: Header=BB1_77 Depth=1
	v_add_nc_u32_e32 v4, 1, v9
	s_or_b32 s16, s16, exec_lo
	s_branch .LBB1_76
.LBB1_107:
	s_or_b32 exec_lo, exec_lo, s8
	s_delay_alu instid0(SALU_CYCLE_1) | instskip(SKIP_1) | instid1(SALU_CYCLE_1)
	s_and_not1_b32 s0, s2, exec_lo
	s_and_b32 s1, s15, exec_lo
	s_or_b32 s2, s0, s1
.LBB1_108:
	s_or_b32 exec_lo, exec_lo, s4
	v_add_nc_u32_e32 v0, 1, v12
	s_mov_b32 s1, exec_lo
	s_delay_alu instid0(VALU_DEP_1)
	v_cmpx_lt_i32_e64 v0, v11
	s_cbranch_execz .LBB1_132
; %bb.109:
	v_mul_lo_u32 v1, v12, s7
	s_mul_i32 s4, s7, s7
	v_cmp_gt_i32_e64 s0, s7, v10
	s_wait_dscnt 0x0
	v_mul_lo_u32 v5, s4, v0
	s_cmp_lg_u32 s24, 0
	s_mov_b32 s8, 0
	s_cselect_b32 s9, -1, 0
	s_add_co_i32 s10, s7, 1
	s_add_co_i32 s11, s7, -1
	v_mad_u32 v4, s7, v1, s7
	s_delay_alu instid0(VALU_DEP_2)
	v_add3_u32 v5, v5, s7, v10
	s_branch .LBB1_111
.LBB1_110:                              ;   in Loop: Header=BB1_111 Depth=1
	s_delay_alu instid0(VALU_DEP_1) | instskip(NEXT) | instid1(VALU_DEP_1)
	v_dual_add_nc_u32 v0, 1, v0 :: v_dual_add_nc_u32 v5, s4, v5
	v_cmp_ge_i32_e32 vcc_lo, v0, v11
	s_or_b32 s8, vcc_lo, s8
	s_delay_alu instid0(SALU_CYCLE_1)
	s_and_not1_b32 exec_lo, exec_lo, s8
	s_cbranch_execz .LBB1_132
.LBB1_111:                              ; =>This Loop Header: Depth=1
                                        ;     Child Loop BB1_114 Depth 2
                                        ;       Child Loop BB1_117 Depth 3
                                        ;         Child Loop BB1_120 Depth 4
	s_and_not1_b32 vcc_lo, exec_lo, s3
	s_cbranch_vccnz .LBB1_110
; %bb.112:                              ;   in Loop: Header=BB1_111 Depth=1
	v_mul_lo_u32 v6, v0, s7
	s_delay_alu instid0(VALU_DEP_3)
	v_dual_mov_b32 v7, v5 :: v_dual_mov_b32 v8, v4
	s_mov_b32 s15, 0
	s_mov_b32 s14, s11
	s_branch .LBB1_114
.LBB1_113:                              ;   in Loop: Header=BB1_114 Depth=2
	s_or_b32 exec_lo, exec_lo, s17
	v_dual_add_nc_u32 v8, s10, v8 :: v_dual_add_nc_u32 v7, s7, v7
	s_add_co_i32 s14, s14, -1
	s_cmp_eq_u32 s16, s7
	s_mov_b32 s15, s16
	s_cbranch_scc1 .LBB1_110
.LBB1_114:                              ;   Parent Loop BB1_111 Depth=1
                                        ; =>  This Loop Header: Depth=2
                                        ;       Child Loop BB1_117 Depth 3
                                        ;         Child Loop BB1_120 Depth 4
	s_add_co_i32 s16, s15, 1
	s_and_saveexec_b32 s17, s0
	s_cbranch_execz .LBB1_113
; %bb.115:                              ;   in Loop: Header=BB1_114 Depth=2
	s_delay_alu instid0(VALU_DEP_2) | instskip(SKIP_2) | instid1(VALU_DEP_2)
	v_dual_add_nc_u32 v9, s15, v1 :: v_dual_add_nc_u32 v12, s15, v6
	v_dual_mov_b32 v13, v7 :: v_dual_mov_b32 v14, v10
	s_cmp_lt_i32 s16, s7
	v_mul_lo_u32 v9, v9, s7
	s_delay_alu instid0(VALU_DEP_3)
	v_mul_lo_u32 v12, v12, s7
	s_cselect_b32 s22, -1, 0
	s_mov_b32 s23, 0
	s_branch .LBB1_117
.LBB1_116:                              ;   in Loop: Header=BB1_117 Depth=3
	v_dual_add_nc_u32 v14, 32, v14 :: v_dual_add_nc_u32 v13, 32, v13
	s_delay_alu instid0(VALU_DEP_1)
	v_cmp_le_i32_e32 vcc_lo, s7, v14
	s_or_b32 s23, vcc_lo, s23
	s_wait_xcnt 0x0
	s_and_not1_b32 exec_lo, exec_lo, s23
	s_cbranch_execz .LBB1_113
.LBB1_117:                              ;   Parent Loop BB1_111 Depth=1
                                        ;     Parent Loop BB1_114 Depth=2
                                        ; =>    This Loop Header: Depth=3
                                        ;         Child Loop BB1_120 Depth 4
	s_and_not1_b32 vcc_lo, exec_lo, s22
	s_cbranch_vccnz .LBB1_116
; %bb.118:                              ;   in Loop: Header=BB1_117 Depth=3
	s_delay_alu instid0(VALU_DEP_1) | instskip(SKIP_3) | instid1(VALU_DEP_1)
	v_dual_add_nc_u32 v15, v14, v6 :: v_dual_add_nc_u32 v17, v14, v12
	s_mov_b32 s24, 0
	s_mov_b32 s25, s14
	s_mov_b32 s26, s16
	v_mul_lo_u32 v15, v15, s7
	s_delay_alu instid0(VALU_DEP_1)
	v_add_nc_u32_e32 v16, s15, v15
	s_branch .LBB1_120
.LBB1_119:                              ;   in Loop: Header=BB1_120 Depth=4
	s_wait_loadcnt 0x0
	v_fma_f32 v18, -v18, v19, v22
	s_add_co_i32 s25, s25, -1
	s_add_co_i32 s26, s26, 1
	s_add_co_i32 s24, s24, s7
	s_cmp_eq_u32 s25, 0
	global_store_b32 v20, v18, s[12:13] scale_offset
	s_cbranch_scc1 .LBB1_116
.LBB1_120:                              ;   Parent Loop BB1_111 Depth=1
                                        ;     Parent Loop BB1_114 Depth=2
                                        ;       Parent Loop BB1_117 Depth=3
                                        ; =>      This Inner Loop Header: Depth=4
	s_and_b32 vcc_lo, exec_lo, s9
	s_cbranch_vccz .LBB1_128
; %bb.121:                              ;   in Loop: Header=BB1_120 Depth=4
	s_wait_xcnt 0x0
	v_add_nc_u32_e32 v20, s26, v9
	v_mov_b32_e32 v21, v16
	s_cbranch_execnz .LBB1_123
.LBB1_122:                              ;   in Loop: Header=BB1_120 Depth=4
	s_wait_xcnt 0x0
	v_dual_mov_b32 v21, v17 :: v_dual_add_nc_u32 v20, s24, v8
.LBB1_123:                              ;   in Loop: Header=BB1_120 Depth=4
	s_clause 0x1
	global_load_b32 v18, v20, s[12:13] scale_offset
	global_load_b32 v19, v21, s[12:13] scale_offset
	s_wait_xcnt 0x1
	v_add_nc_u32_e32 v20, s26, v15
	s_and_b32 vcc_lo, exec_lo, s9
	s_cbranch_vccz .LBB1_129
; %bb.124:                              ;   in Loop: Header=BB1_120 Depth=4
	v_add_nc_u32_e32 v22, s26, v15
	s_wait_xcnt 0x0
	v_add_nc_u32_e32 v21, s24, v13
	s_cbranch_execnz .LBB1_126
.LBB1_125:                              ;   in Loop: Header=BB1_120 Depth=4
	v_add_nc_u32_e32 v22, s24, v13
.LBB1_126:                              ;   in Loop: Header=BB1_120 Depth=4
	global_load_b32 v22, v22, s[12:13] scale_offset
	s_and_b32 vcc_lo, exec_lo, s9
	s_cbranch_vccz .LBB1_130
; %bb.127:                              ;   in Loop: Header=BB1_120 Depth=4
	s_cbranch_execnz .LBB1_119
	s_branch .LBB1_131
.LBB1_128:                              ;   in Loop: Header=BB1_120 Depth=4
                                        ; implicit-def: $vgpr20
	s_delay_alu instid0(VALU_DEP_1)
	v_mov_b32_e32 v21, v16
	s_branch .LBB1_122
.LBB1_129:                              ;   in Loop: Header=BB1_120 Depth=4
                                        ; implicit-def: $vgpr22
	s_wait_xcnt 0x0
	v_add_nc_u32_e32 v21, s24, v13
	s_branch .LBB1_125
.LBB1_130:                              ;   in Loop: Header=BB1_120 Depth=4
                                        ; implicit-def: $vgpr20
.LBB1_131:                              ;   in Loop: Header=BB1_120 Depth=4
	v_mov_b32_e32 v20, v21
	s_branch .LBB1_119
.LBB1_132:
	s_or_b32 exec_lo, exec_lo, s1
	s_delay_alu instid0(SALU_CYCLE_1)
	s_or_not1_b32 s2, s2, exec_lo
.LBB1_133:
	s_or_b32 exec_lo, exec_lo, s5
	v_cmp_eq_u32_e32 vcc_lo, 0, v10
	s_and_b32 exec_lo, exec_lo, vcc_lo
	s_cbranch_execz .LBB1_139
; %bb.134:
	v_lshl_add_u64 v[0:1], v[2:3], 2, s[20:21]
	v_mov_b32_e32 v3, 1
	global_wb scope:SCOPE_DEV
	s_wait_storecnt_dscnt 0x0
	global_store_b32 v[0:1], v3, off scope:SCOPE_DEV
	s_wait_xcnt 0x0
	s_and_b32 exec_lo, exec_lo, s2
	s_cbranch_execz .LBB1_139
; %bb.135:
	v_add_nc_u32_e32 v0, s6, v2
	s_mov_b32 s1, exec_lo
	s_brev_b32 s0, -2
.LBB1_136:                              ; =>This Inner Loop Header: Depth=1
	s_ctz_i32_b32 s2, s1
	s_delay_alu instid0(VALU_DEP_1) | instid1(SALU_CYCLE_1)
	v_readlane_b32 s3, v0, s2
	s_lshl_b32 s2, 1, s2
	s_delay_alu instid0(SALU_CYCLE_1)
	s_and_not1_b32 s1, s1, s2
	s_min_i32 s0, s0, s3
	s_cmp_lg_u32 s1, 0
	s_cbranch_scc1 .LBB1_136
; %bb.137:
	v_mbcnt_lo_u32_b32 v0, exec_lo, 0
	s_mov_b32 s1, exec_lo
	s_delay_alu instid0(VALU_DEP_1)
	v_cmpx_eq_u32_e32 0, v0
	s_xor_b32 s1, exec_lo, s1
	s_cbranch_execz .LBB1_139
; %bb.138:
	v_dual_mov_b32 v0, 0 :: v_dual_mov_b32 v1, s0
	global_atomic_min_i32 v0, v1, s[18:19] scope:SCOPE_DEV
.LBB1_139:
	s_endpgm
	.section	.rodata,"a",@progbits
	.p2align	6, 0x0
	.amdhsa_kernel _ZN9rocsparseL15bsrilu0_generalILj128ELj32ELb0EfEEv20rocsparse_direction_iPKiS3_PT2_S3_iPiS3_S6_21rocsparse_index_base_imNS_24const_host_device_scalarIfEENS8_IdEENS8_IS4_EEb
		.amdhsa_group_segment_fixed_size 0
		.amdhsa_private_segment_fixed_size 0
		.amdhsa_kernarg_size 116
		.amdhsa_user_sgpr_count 2
		.amdhsa_user_sgpr_dispatch_ptr 0
		.amdhsa_user_sgpr_queue_ptr 0
		.amdhsa_user_sgpr_kernarg_segment_ptr 1
		.amdhsa_user_sgpr_dispatch_id 0
		.amdhsa_user_sgpr_kernarg_preload_length 0
		.amdhsa_user_sgpr_kernarg_preload_offset 0
		.amdhsa_user_sgpr_private_segment_size 0
		.amdhsa_wavefront_size32 1
		.amdhsa_uses_dynamic_stack 0
		.amdhsa_enable_private_segment 0
		.amdhsa_system_sgpr_workgroup_id_x 1
		.amdhsa_system_sgpr_workgroup_id_y 0
		.amdhsa_system_sgpr_workgroup_id_z 0
		.amdhsa_system_sgpr_workgroup_info 0
		.amdhsa_system_vgpr_workitem_id 0
		.amdhsa_next_free_vgpr 33
		.amdhsa_next_free_sgpr 46
		.amdhsa_named_barrier_count 0
		.amdhsa_reserve_vcc 1
		.amdhsa_float_round_mode_32 0
		.amdhsa_float_round_mode_16_64 0
		.amdhsa_float_denorm_mode_32 3
		.amdhsa_float_denorm_mode_16_64 3
		.amdhsa_fp16_overflow 0
		.amdhsa_memory_ordered 1
		.amdhsa_forward_progress 1
		.amdhsa_inst_pref_size 31
		.amdhsa_round_robin_scheduling 0
		.amdhsa_exception_fp_ieee_invalid_op 0
		.amdhsa_exception_fp_denorm_src 0
		.amdhsa_exception_fp_ieee_div_zero 0
		.amdhsa_exception_fp_ieee_overflow 0
		.amdhsa_exception_fp_ieee_underflow 0
		.amdhsa_exception_fp_ieee_inexact 0
		.amdhsa_exception_int_div_zero 0
	.end_amdhsa_kernel
	.section	.text._ZN9rocsparseL15bsrilu0_generalILj128ELj32ELb0EfEEv20rocsparse_direction_iPKiS3_PT2_S3_iPiS3_S6_21rocsparse_index_base_imNS_24const_host_device_scalarIfEENS8_IdEENS8_IS4_EEb,"axG",@progbits,_ZN9rocsparseL15bsrilu0_generalILj128ELj32ELb0EfEEv20rocsparse_direction_iPKiS3_PT2_S3_iPiS3_S6_21rocsparse_index_base_imNS_24const_host_device_scalarIfEENS8_IdEENS8_IS4_EEb,comdat
.Lfunc_end1:
	.size	_ZN9rocsparseL15bsrilu0_generalILj128ELj32ELb0EfEEv20rocsparse_direction_iPKiS3_PT2_S3_iPiS3_S6_21rocsparse_index_base_imNS_24const_host_device_scalarIfEENS8_IdEENS8_IS4_EEb, .Lfunc_end1-_ZN9rocsparseL15bsrilu0_generalILj128ELj32ELb0EfEEv20rocsparse_direction_iPKiS3_PT2_S3_iPiS3_S6_21rocsparse_index_base_imNS_24const_host_device_scalarIfEENS8_IdEENS8_IS4_EEb
                                        ; -- End function
	.set _ZN9rocsparseL15bsrilu0_generalILj128ELj32ELb0EfEEv20rocsparse_direction_iPKiS3_PT2_S3_iPiS3_S6_21rocsparse_index_base_imNS_24const_host_device_scalarIfEENS8_IdEENS8_IS4_EEb.num_vgpr, 33
	.set _ZN9rocsparseL15bsrilu0_generalILj128ELj32ELb0EfEEv20rocsparse_direction_iPKiS3_PT2_S3_iPiS3_S6_21rocsparse_index_base_imNS_24const_host_device_scalarIfEENS8_IdEENS8_IS4_EEb.num_agpr, 0
	.set _ZN9rocsparseL15bsrilu0_generalILj128ELj32ELb0EfEEv20rocsparse_direction_iPKiS3_PT2_S3_iPiS3_S6_21rocsparse_index_base_imNS_24const_host_device_scalarIfEENS8_IdEENS8_IS4_EEb.numbered_sgpr, 46
	.set _ZN9rocsparseL15bsrilu0_generalILj128ELj32ELb0EfEEv20rocsparse_direction_iPKiS3_PT2_S3_iPiS3_S6_21rocsparse_index_base_imNS_24const_host_device_scalarIfEENS8_IdEENS8_IS4_EEb.num_named_barrier, 0
	.set _ZN9rocsparseL15bsrilu0_generalILj128ELj32ELb0EfEEv20rocsparse_direction_iPKiS3_PT2_S3_iPiS3_S6_21rocsparse_index_base_imNS_24const_host_device_scalarIfEENS8_IdEENS8_IS4_EEb.private_seg_size, 0
	.set _ZN9rocsparseL15bsrilu0_generalILj128ELj32ELb0EfEEv20rocsparse_direction_iPKiS3_PT2_S3_iPiS3_S6_21rocsparse_index_base_imNS_24const_host_device_scalarIfEENS8_IdEENS8_IS4_EEb.uses_vcc, 1
	.set _ZN9rocsparseL15bsrilu0_generalILj128ELj32ELb0EfEEv20rocsparse_direction_iPKiS3_PT2_S3_iPiS3_S6_21rocsparse_index_base_imNS_24const_host_device_scalarIfEENS8_IdEENS8_IS4_EEb.uses_flat_scratch, 0
	.set _ZN9rocsparseL15bsrilu0_generalILj128ELj32ELb0EfEEv20rocsparse_direction_iPKiS3_PT2_S3_iPiS3_S6_21rocsparse_index_base_imNS_24const_host_device_scalarIfEENS8_IdEENS8_IS4_EEb.has_dyn_sized_stack, 0
	.set _ZN9rocsparseL15bsrilu0_generalILj128ELj32ELb0EfEEv20rocsparse_direction_iPKiS3_PT2_S3_iPiS3_S6_21rocsparse_index_base_imNS_24const_host_device_scalarIfEENS8_IdEENS8_IS4_EEb.has_recursion, 0
	.set _ZN9rocsparseL15bsrilu0_generalILj128ELj32ELb0EfEEv20rocsparse_direction_iPKiS3_PT2_S3_iPiS3_S6_21rocsparse_index_base_imNS_24const_host_device_scalarIfEENS8_IdEENS8_IS4_EEb.has_indirect_call, 0
	.section	.AMDGPU.csdata,"",@progbits
; Kernel info:
; codeLenInByte = 3920
; TotalNumSgprs: 48
; NumVgprs: 33
; ScratchSize: 0
; MemoryBound: 0
; FloatMode: 240
; IeeeMode: 1
; LDSByteSize: 0 bytes/workgroup (compile time only)
; SGPRBlocks: 0
; VGPRBlocks: 2
; NumSGPRsForWavesPerEU: 48
; NumVGPRsForWavesPerEU: 33
; NamedBarCnt: 0
; Occupancy: 16
; WaveLimiterHint : 1
; COMPUTE_PGM_RSRC2:SCRATCH_EN: 0
; COMPUTE_PGM_RSRC2:USER_SGPR: 2
; COMPUTE_PGM_RSRC2:TRAP_HANDLER: 0
; COMPUTE_PGM_RSRC2:TGID_X_EN: 1
; COMPUTE_PGM_RSRC2:TGID_Y_EN: 0
; COMPUTE_PGM_RSRC2:TGID_Z_EN: 0
; COMPUTE_PGM_RSRC2:TIDIG_COMP_CNT: 0
	.section	.text._ZN9rocsparseL11bsrilu0_2_8ILj64ELj64ELj8EfEEv20rocsparse_direction_iPKiS3_PT2_S3_iPiS3_S6_21rocsparse_index_base_imNS_24const_host_device_scalarIfEENS8_IdEENS8_IS4_EEb,"axG",@progbits,_ZN9rocsparseL11bsrilu0_2_8ILj64ELj64ELj8EfEEv20rocsparse_direction_iPKiS3_PT2_S3_iPiS3_S6_21rocsparse_index_base_imNS_24const_host_device_scalarIfEENS8_IdEENS8_IS4_EEb,comdat
	.globl	_ZN9rocsparseL11bsrilu0_2_8ILj64ELj64ELj8EfEEv20rocsparse_direction_iPKiS3_PT2_S3_iPiS3_S6_21rocsparse_index_base_imNS_24const_host_device_scalarIfEENS8_IdEENS8_IS4_EEb ; -- Begin function _ZN9rocsparseL11bsrilu0_2_8ILj64ELj64ELj8EfEEv20rocsparse_direction_iPKiS3_PT2_S3_iPiS3_S6_21rocsparse_index_base_imNS_24const_host_device_scalarIfEENS8_IdEENS8_IS4_EEb
	.p2align	8
	.type	_ZN9rocsparseL11bsrilu0_2_8ILj64ELj64ELj8EfEEv20rocsparse_direction_iPKiS3_PT2_S3_iPiS3_S6_21rocsparse_index_base_imNS_24const_host_device_scalarIfEENS8_IdEENS8_IS4_EEb,@function
_ZN9rocsparseL11bsrilu0_2_8ILj64ELj64ELj8EfEEv20rocsparse_direction_iPKiS3_PT2_S3_iPiS3_S6_21rocsparse_index_base_imNS_24const_host_device_scalarIfEENS8_IdEENS8_IS4_EEb: ; @_ZN9rocsparseL11bsrilu0_2_8ILj64ELj64ELj8EfEEv20rocsparse_direction_iPKiS3_PT2_S3_iPiS3_S6_21rocsparse_index_base_imNS_24const_host_device_scalarIfEENS8_IdEENS8_IS4_EEb
; %bb.0:
	s_clause 0x2
	s_load_b32 s2, s[0:1], 0x70
	s_load_b64 s[20:21], s[0:1], 0x48
	s_load_b256 s[12:19], s[0:1], 0x50
	s_wait_kmcnt 0x0
	s_bitcmp1_b32 s2, 0
	s_cselect_b32 s2, -1, 0
	s_cmp_eq_u32 s21, 0
	s_cselect_b32 s4, -1, 0
	s_cmp_lg_u32 s21, 0
	s_cselect_b32 s31, -1, 0
	s_or_b32 s6, s4, s2
	s_delay_alu instid0(SALU_CYCLE_1)
	s_xor_b32 s5, s6, -1
	s_and_b32 s2, s4, exec_lo
	s_cselect_b32 s3, 0, s17
	s_cselect_b32 s2, 0, s16
	;; [unrolled: 1-line block ×3, first 2 shown]
	s_and_b32 vcc_lo, exec_lo, s6
	s_cbranch_vccnz .LBB2_2
; %bb.1:
	s_load_b32 s35, s[14:15], 0x0
	s_mov_b64 s[2:3], s[16:17]
.LBB2_2:
	s_delay_alu instid0(SALU_CYCLE_1)
	v_mov_b64_e32 v[2:3], s[2:3]
	v_cndmask_b32_e64 v1, 0, 1, s5
	s_and_not1_b32 vcc_lo, exec_lo, s5
	s_cbranch_vccnz .LBB2_4
; %bb.3:
	v_mov_b32_e32 v2, 0
	flat_load_b64 v[2:3], v2, s[16:17]
.LBB2_4:
	s_delay_alu instid0(VALU_DEP_1)
	v_cmp_ne_u32_e32 vcc_lo, 1, v1
	s_and_b32 s2, s4, exec_lo
	s_cselect_b32 s33, 0, s18
	s_cbranch_vccnz .LBB2_6
; %bb.5:
	s_load_b32 s33, s[18:19], 0x0
.LBB2_6:
	s_wait_xcnt 0x0
	s_load_b128 s[16:19], s[0:1], 0x30
	s_bfe_u32 s2, ttmp6, 0x4000c
	s_and_b32 s3, ttmp6, 15
	s_add_co_i32 s2, s2, 1
	s_getreg_b32 s4, hwreg(HW_REG_IB_STS2, 6, 4)
	s_mul_i32 s2, ttmp9, s2
	s_delay_alu instid0(SALU_CYCLE_1)
	s_add_co_i32 s3, s3, s2
	s_cmp_eq_u32 s4, 0
	s_cselect_b32 s2, ttmp9, s3
	s_load_b64 s[14:15], s[0:1], 0x40
	s_wait_kmcnt 0x0
	s_load_b32 s22, s[18:19], s2 offset:0x0 scale_offset
	s_load_b256 s[4:11], s[0:1], 0x8
	s_wait_kmcnt 0x0
	s_ashr_i32 s23, s22, 31
	s_delay_alu instid0(SALU_CYCLE_1) | instskip(NEXT) | instid1(SALU_CYCLE_1)
	s_lshl_b64 s[18:19], s[22:23], 2
	s_add_nc_u64 s[2:3], s[10:11], s[18:19]
	s_load_b32 s34, s[2:3], 0x0
	s_wait_kmcnt 0x0
	s_cmp_eq_u32 s34, -1
	s_cbranch_scc1 .LBB2_80
; %bb.7:
	s_add_nc_u64 s[2:3], s[4:5], s[18:19]
	v_bfe_u32 v1, v0, 10, 10
	s_load_b64 s[26:27], s[2:3], 0x0
	s_clause 0x1
	s_load_b64 s[24:25], s[0:1], 0x0
	s_load_b32 s21, s[0:1], 0x28
	v_and_b32_e32 v9, 0x3ff, v0
	s_mov_b32 s30, 0
	v_mul_u32_u24_e32 v10, 36, v1
	v_add_nc_u32_e32 v8, 1, v1
	s_wait_kmcnt 0x0
	s_sub_co_i32 s36, s26, s20
	s_sub_co_i32 s23, s27, s20
	s_cmp_ge_i32 s36, s34
	s_cbranch_scc1 .LBB2_58
; %bb.8:
	v_dual_lshlrev_b32 v4, 2, v9 :: v_dual_add_nc_u32 v14, s36, v9
	s_cmp_eq_u32 s24, 0
	v_max_u32_e32 v5, v9, v1
	s_cselect_b32 vcc_lo, -1, 0
	s_cmp_gt_i32 s21, 0
	v_dual_cndmask_b32 v16, v9, v1 :: v_dual_add_nc_u32 v11, 0x120, v4
	v_mad_u32_u24 v12, v1, 36, v4
	s_cselect_b32 s37, -1, 0
	s_add_co_i32 s25, s25, 1
	s_cmp_lg_u32 s21, 1
	v_cmp_eq_u32_e64 s2, 0, v1
	v_cmp_gt_u32_e64 s3, s21, v5
	v_mad_u32_u24 v13, v1, 36, v11
	v_dual_cndmask_b32 v15, v1, v9 :: v_dual_mov_b32 v20, 0
	s_cselect_b32 s38, -1, 0
	s_and_b32 s39, s21, 0x7ffffffe
	v_add_nc_u32_e32 v17, 1, v1
	v_mad_u32_u24 v18, v1, 36, 36
	v_add_nc_u32_e32 v19, 0x144, v12
	s_bitcmp1_b32 s21, 0
	s_add_nc_u64 s[26:27], s[0:1], 0x78
	s_cselect_b32 s40, -1, 0
	s_branch .LBB2_11
.LBB2_9:                                ;   in Loop: Header=BB2_11 Depth=1
	s_mov_b32 s30, -1
.LBB2_10:                               ;   in Loop: Header=BB2_11 Depth=1
	s_add_co_i32 s36, s36, 1
	s_delay_alu instid0(SALU_CYCLE_1) | instskip(SKIP_1) | instid1(SALU_CYCLE_1)
	s_cmp_lt_i32 s36, s34
	s_cselect_b32 s1, -1, 0
	s_and_b32 s0, s0, s1
	s_delay_alu instid0(SALU_CYCLE_1)
	s_and_b32 vcc_lo, exec_lo, s0
	s_cbranch_vccz .LBB2_58
.LBB2_11:                               ; =>This Loop Header: Depth=1
                                        ;     Child Loop BB2_15 Depth 2
                                        ;     Child Loop BB2_22 Depth 2
	;; [unrolled: 1-line block ×3, first 2 shown]
                                        ;       Child Loop BB2_47 Depth 3
                                        ;       Child Loop BB2_55 Depth 3
	v_mov_b32_e32 v4, s36
	global_load_b32 v4, v4, s[6:7] scale_offset
	s_wait_loadcnt 0x0
	v_readfirstlane_b32 s0, v4
	s_wait_xcnt 0x0
	v_mov_b32_e32 v4, 0
	s_and_saveexec_b32 s1, s3
	s_cbranch_execz .LBB2_13
; %bb.12:                               ;   in Loop: Header=BB2_11 Depth=1
	v_mad_u32 v4, s36, s21, v15
	s_delay_alu instid0(VALU_DEP_1)
	v_mad_u32 v4, v4, s21, v16
	global_load_b32 v4, v4, s[8:9] scale_offset
.LBB2_13:                               ;   in Loop: Header=BB2_11 Depth=1
	s_wait_xcnt 0x0
	s_or_b32 exec_lo, exec_lo, s1
	s_sub_co_i32 s28, s0, s20
	s_wait_loadcnt 0x0
	ds_store_b32 v13, v4
	v_mov_b32_e32 v5, s28
	global_load_b32 v5, v5, s[10:11] scale_offset
	s_wait_loadcnt 0x0
	v_cmp_eq_u32_e32 vcc_lo, -1, v5
	v_readfirstlane_b32 s1, v5
	v_cmp_ne_u32_e64 s0, -1, v5
	s_cbranch_vccnz .LBB2_9
; %bb.14:                               ;   in Loop: Header=BB2_11 Depth=1
	s_ashr_i32 s29, s28, 31
	s_delay_alu instid0(SALU_CYCLE_1) | instskip(NEXT) | instid1(SALU_CYCLE_1)
	s_lshl_b64 s[28:29], s[28:29], 2
	s_add_nc_u64 s[42:43], s[4:5], s[28:29]
	s_add_nc_u64 s[28:29], s[16:17], s[28:29]
	global_load_b32 v4, v20, s[42:43] offset:4
	s_wait_loadcnt 0x0
	v_readfirstlane_b32 s41, v4
.LBB2_15:                               ;   Parent Loop BB2_11 Depth=1
                                        ; =>  This Inner Loop Header: Depth=2
	global_load_b32 v4, v20, s[28:29] scope:SCOPE_DEV
	s_wait_loadcnt 0x0
	v_cmp_eq_u32_e32 vcc_lo, 0, v4
	s_cbranch_vccnz .LBB2_15
; %bb.16:                               ;   in Loop: Header=BB2_11 Depth=1
	v_mov_b32_e32 v4, 0
	s_wait_dscnt 0x0
	global_inv scope:SCOPE_DEV
	s_wait_xcnt 0x0
	s_and_saveexec_b32 s28, s3
	s_cbranch_execz .LBB2_18
; %bb.17:                               ;   in Loop: Header=BB2_11 Depth=1
	v_mad_u32 v4, s1, s21, v15
	s_delay_alu instid0(VALU_DEP_1)
	v_mad_u32 v4, v4, s21, v16
	global_load_b32 v4, v4, s[8:9] scale_offset
.LBB2_18:                               ;   in Loop: Header=BB2_11 Depth=1
	s_wait_xcnt 0x0
	s_or_b32 exec_lo, exec_lo, s28
	s_delay_alu instid0(SALU_CYCLE_1)
	s_and_not1_b32 vcc_lo, exec_lo, s37
	s_wait_loadcnt 0x0
	ds_store_b32 v12, v4
	s_wait_dscnt 0x0
	s_cbranch_vccnz .LBB2_36
; %bb.19:                               ;   in Loop: Header=BB2_11 Depth=1
	s_and_not1_b32 vcc_lo, exec_lo, s38
	s_mov_b32 s42, 0
	s_cbranch_vccnz .LBB2_30
; %bb.20:                               ;   in Loop: Header=BB2_11 Depth=1
	v_dual_mov_b32 v4, v11 :: v_dual_mov_b32 v5, v19
	v_mov_b32_e32 v6, v18
	s_mov_b32 s28, 0
	s_mov_b32 s29, 0
	s_branch .LBB2_22
.LBB2_21:                               ;   in Loop: Header=BB2_22 Depth=2
	s_or_b32 exec_lo, exec_lo, s42
	v_add_nc_u32_e32 v6, 0x50, v6
	v_add_nc_u32_e32 v5, 0x48, v5
	;; [unrolled: 1-line block ×3, first 2 shown]
	s_add_co_i32 s29, s29, 2
	s_addk_co_i32 s28, 0x50
	s_cmp_eq_u32 s39, s29
	s_mov_b32 s42, s39
	s_wait_dscnt 0x0
	s_cbranch_scc1 .LBB2_30
.LBB2_22:                               ;   Parent Loop BB2_11 Depth=1
                                        ; =>  This Inner Loop Header: Depth=2
	v_mov_b32_e32 v7, s28
	ds_load_b32 v7, v7
	ds_load_b32 v21, v4
	s_wait_dscnt 0x0
	v_div_scale_f32 v22, null, v7, v7, v21
	s_delay_alu instid0(VALU_DEP_1) | instskip(SKIP_1) | instid1(TRANS32_DEP_1)
	v_rcp_f32_e32 v23, v22
	v_nop
	v_fma_f32 v24, -v22, v23, 1.0
	s_delay_alu instid0(VALU_DEP_1) | instskip(SKIP_1) | instid1(VALU_DEP_1)
	v_fmac_f32_e32 v23, v24, v23
	v_div_scale_f32 v24, vcc_lo, v21, v7, v21
	v_mul_f32_e32 v25, v24, v23
	s_delay_alu instid0(VALU_DEP_1) | instskip(NEXT) | instid1(VALU_DEP_1)
	v_fma_f32 v26, -v22, v25, v24
	v_fmac_f32_e32 v25, v26, v23
	s_delay_alu instid0(VALU_DEP_1) | instskip(NEXT) | instid1(VALU_DEP_1)
	v_fma_f32 v22, -v22, v25, v24
	v_div_fmas_f32 v22, v22, v23, v25
	s_delay_alu instid0(VALU_DEP_1)
	v_div_fixup_f32 v21, v22, v7, v21
	s_and_saveexec_b32 s42, s2
; %bb.23:                               ;   in Loop: Header=BB2_22 Depth=2
	ds_store_b32 v4, v21
; %bb.24:                               ;   in Loop: Header=BB2_22 Depth=2
	s_or_b32 exec_lo, exec_lo, s42
	v_add_nc_u32_e32 v7, s29, v1
	s_mov_b32 s42, exec_lo
	s_delay_alu instid0(VALU_DEP_1) | instskip(NEXT) | instid1(VALU_DEP_1)
	v_add_nc_u32_e32 v22, 1, v7
	v_cmpx_gt_i32_e64 s21, v22
	s_cbranch_execz .LBB2_26
; %bb.25:                               ;   in Loop: Header=BB2_22 Depth=2
	ds_load_b32 v22, v6
	ds_load_b32 v23, v5
	s_wait_dscnt 0x0
	v_fma_f32 v21, -v21, v22, v23
	ds_store_b32 v5, v21
.LBB2_26:                               ;   in Loop: Header=BB2_22 Depth=2
	s_or_b32 exec_lo, exec_lo, s42
	v_mov_b32_e32 v21, s28
	s_wait_dscnt 0x0
	ds_load_b32 v21, v21 offset:40
	ds_load_b32 v22, v4 offset:36
	s_wait_dscnt 0x0
	v_div_scale_f32 v23, null, v21, v21, v22
	s_delay_alu instid0(VALU_DEP_1) | instskip(SKIP_1) | instid1(TRANS32_DEP_1)
	v_rcp_f32_e32 v24, v23
	v_nop
	v_fma_f32 v25, -v23, v24, 1.0
	s_delay_alu instid0(VALU_DEP_1) | instskip(SKIP_1) | instid1(VALU_DEP_1)
	v_fmac_f32_e32 v24, v25, v24
	v_div_scale_f32 v25, vcc_lo, v22, v21, v22
	v_mul_f32_e32 v26, v25, v24
	s_delay_alu instid0(VALU_DEP_1) | instskip(NEXT) | instid1(VALU_DEP_1)
	v_fma_f32 v27, -v23, v26, v25
	v_fmac_f32_e32 v26, v27, v24
	s_delay_alu instid0(VALU_DEP_1) | instskip(NEXT) | instid1(VALU_DEP_1)
	v_fma_f32 v23, -v23, v26, v25
	v_div_fmas_f32 v23, v23, v24, v26
	s_delay_alu instid0(VALU_DEP_1)
	v_div_fixup_f32 v21, v23, v21, v22
	s_and_saveexec_b32 s42, s2
; %bb.27:                               ;   in Loop: Header=BB2_22 Depth=2
	ds_store_b32 v4, v21 offset:36
; %bb.28:                               ;   in Loop: Header=BB2_22 Depth=2
	s_or_b32 exec_lo, exec_lo, s42
	v_add_nc_u32_e32 v7, 2, v7
	s_mov_b32 s42, exec_lo
	s_delay_alu instid0(VALU_DEP_1)
	v_cmpx_gt_i32_e64 s21, v7
	s_cbranch_execz .LBB2_21
; %bb.29:                               ;   in Loop: Header=BB2_22 Depth=2
	ds_load_b32 v7, v6 offset:40
	ds_load_b32 v22, v5 offset:36
	s_wait_dscnt 0x0
	v_fma_f32 v7, -v21, v7, v22
	ds_store_b32 v5, v7 offset:36
	s_branch .LBB2_21
.LBB2_30:                               ;   in Loop: Header=BB2_11 Depth=1
	s_and_not1_b32 vcc_lo, exec_lo, s40
	s_cbranch_vccnz .LBB2_36
; %bb.31:                               ;   in Loop: Header=BB2_11 Depth=1
	s_mul_i32 s28, s42, 36
	s_lshl_b32 s29, s42, 2
	v_add_nc_u32_e32 v4, s28, v11
	s_add_co_i32 s43, s28, s29
	s_delay_alu instid0(SALU_CYCLE_1) | instskip(SKIP_4) | instid1(VALU_DEP_1)
	v_mov_b32_e32 v5, s43
	ds_load_b32 v5, v5
	ds_load_b32 v6, v4
	s_wait_dscnt 0x0
	v_div_scale_f32 v7, null, v5, v5, v6
	v_rcp_f32_e32 v21, v7
	v_nop
	s_delay_alu instid0(TRANS32_DEP_1) | instskip(NEXT) | instid1(VALU_DEP_1)
	v_fma_f32 v22, -v7, v21, 1.0
	v_fmac_f32_e32 v21, v22, v21
	v_div_scale_f32 v22, vcc_lo, v6, v5, v6
	s_delay_alu instid0(VALU_DEP_1) | instskip(NEXT) | instid1(VALU_DEP_1)
	v_mul_f32_e32 v23, v22, v21
	v_fma_f32 v24, -v7, v23, v22
	s_delay_alu instid0(VALU_DEP_1) | instskip(NEXT) | instid1(VALU_DEP_1)
	v_fmac_f32_e32 v23, v24, v21
	v_fma_f32 v7, -v7, v23, v22
	s_delay_alu instid0(VALU_DEP_1) | instskip(NEXT) | instid1(VALU_DEP_1)
	v_div_fmas_f32 v7, v7, v21, v23
	v_div_fixup_f32 v5, v7, v5, v6
	s_and_saveexec_b32 s43, s2
; %bb.32:                               ;   in Loop: Header=BB2_11 Depth=1
	ds_store_b32 v4, v5
; %bb.33:                               ;   in Loop: Header=BB2_11 Depth=1
	s_or_b32 exec_lo, exec_lo, s43
	v_add_nc_u32_e32 v6, s42, v17
	s_mov_b32 s42, exec_lo
	s_delay_alu instid0(VALU_DEP_1)
	v_cmpx_gt_i32_e64 s21, v6
	s_cbranch_execz .LBB2_35
; %bb.34:                               ;   in Loop: Header=BB2_11 Depth=1
	v_add3_u32 v6, s29, s28, v10
	v_mad_u32_u24 v4, v1, 36, v4
	ds_load_b32 v6, v6 offset:36
	ds_load_b32 v7, v4 offset:36
	s_wait_dscnt 0x0
	v_fma_f32 v5, -v5, v6, v7
	ds_store_b32 v4, v5 offset:36
.LBB2_35:                               ;   in Loop: Header=BB2_11 Depth=1
	s_or_b32 exec_lo, exec_lo, s42
	s_wait_dscnt 0x0
.LBB2_36:                               ;   in Loop: Header=BB2_11 Depth=1
	s_and_saveexec_b32 s28, s3
	s_cbranch_execz .LBB2_38
; %bb.37:                               ;   in Loop: Header=BB2_11 Depth=1
	v_mad_u32 v4, s36, s21, v15
	ds_load_b32 v5, v13
	v_mad_u32 v4, v4, s21, v16
	s_wait_dscnt 0x0
	global_store_b32 v4, v5, s[8:9] scale_offset
.LBB2_38:                               ;   in Loop: Header=BB2_11 Depth=1
	s_wait_xcnt 0x0
	s_or_b32 exec_lo, exec_lo, s28
	s_sub_co_i32 s28, s41, s20
	s_add_co_i32 s29, s1, 1
	s_delay_alu instid0(SALU_CYCLE_1)
	s_cmp_ge_i32 s29, s28
	s_cbranch_scc1 .LBB2_10
; %bb.39:                               ;   in Loop: Header=BB2_11 Depth=1
	s_load_b32 s1, s[26:27], 0xc
	s_wait_kmcnt 0x0
	s_and_b32 s1, s1, 0xffff
	s_delay_alu instid0(SALU_CYCLE_1) | instskip(NEXT) | instid1(VALU_DEP_1)
	v_mad_u32_u24 v4, v1, s1, v14
	v_ashrrev_i32_e32 v5, 31, v4
	v_cmp_gt_i32_e64 s1, s23, v4
	s_delay_alu instid0(VALU_DEP_2)
	v_lshl_add_u64 v[6:7], v[4:5], 2, s[6:7]
	s_branch .LBB2_42
.LBB2_40:                               ;   in Loop: Header=BB2_42 Depth=2
	s_wait_xcnt 0x0
	s_or_b32 exec_lo, exec_lo, s41
.LBB2_41:                               ;   in Loop: Header=BB2_42 Depth=2
	s_add_co_i32 s29, s29, 1
	s_wait_storecnt 0x0
	s_cmp_lt_i32 s29, s28
	s_cbranch_scc0 .LBB2_10
.LBB2_42:                               ;   Parent Loop BB2_11 Depth=1
                                        ; =>  This Loop Header: Depth=2
                                        ;       Child Loop BB2_47 Depth 3
                                        ;       Child Loop BB2_55 Depth 3
	v_dual_mov_b32 v5, s29 :: v_dual_mov_b32 v21, s25
	global_load_b32 v5, v5, s[6:7] scale_offset
	s_wait_xcnt 0x0
	s_and_saveexec_b32 s41, s1
	s_cbranch_execz .LBB2_44
; %bb.43:                               ;   in Loop: Header=BB2_42 Depth=2
	global_load_b32 v21, v[6:7], off
	s_wait_loadcnt 0x0
	v_subrev_nc_u32_e32 v21, s20, v21
.LBB2_44:                               ;   in Loop: Header=BB2_42 Depth=2
	s_wait_xcnt 0x0
	s_or_b32 exec_lo, exec_lo, s41
	s_wait_loadcnt 0x0
	v_subrev_nc_u32_e32 v5, s20, v5
	v_mov_b32_e32 v22, v4
	s_mov_b32 s41, exec_lo
	s_delay_alu instid0(VALU_DEP_2)
	v_cmpx_lt_i32_e64 v21, v5
	s_cbranch_execz .LBB2_50
; %bb.45:                               ;   in Loop: Header=BB2_42 Depth=2
	v_mov_b32_e32 v23, v4
	s_mov_b32 s42, 0
	s_branch .LBB2_47
.LBB2_46:                               ;   in Loop: Header=BB2_47 Depth=3
	s_wait_xcnt 0x0
	s_or_b32 exec_lo, exec_lo, s43
	s_delay_alu instid0(VALU_DEP_1) | instskip(SKIP_2) | instid1(SALU_CYCLE_1)
	v_cmp_ge_i32_e32 vcc_lo, v21, v5
	v_mov_b32_e32 v23, v22
	s_or_b32 s42, vcc_lo, s42
	s_and_not1_b32 exec_lo, exec_lo, s42
	s_cbranch_execz .LBB2_49
.LBB2_47:                               ;   Parent Loop BB2_11 Depth=1
                                        ;     Parent Loop BB2_42 Depth=2
                                        ; =>    This Inner Loop Header: Depth=3
	s_delay_alu instid0(VALU_DEP_1) | instskip(SKIP_1) | instid1(VALU_DEP_1)
	v_dual_mov_b32 v21, s25 :: v_dual_add_nc_u32 v22, 64, v23
	s_mov_b32 s43, exec_lo
	v_cmpx_gt_i32_e64 s23, v22
	s_cbranch_execz .LBB2_46
; %bb.48:                               ;   in Loop: Header=BB2_47 Depth=3
	global_load_b32 v21, v23, s[6:7] offset:256 scale_offset
	s_wait_loadcnt 0x0
	v_subrev_nc_u32_e32 v21, s20, v21
	s_branch .LBB2_46
.LBB2_49:                               ;   in Loop: Header=BB2_42 Depth=2
	s_or_b32 exec_lo, exec_lo, s42
.LBB2_50:                               ;   in Loop: Header=BB2_42 Depth=2
	s_delay_alu instid0(SALU_CYCLE_1)
	s_or_b32 exec_lo, exec_lo, s41
	v_cmp_eq_u32_e32 vcc_lo, v21, v5
	s_cbranch_vccz .LBB2_41
; %bb.51:                               ;   in Loop: Header=BB2_42 Depth=2
	s_ctz_i32_b32 s41, vcc_lo
	s_delay_alu instid0(SALU_CYCLE_1) | instskip(NEXT) | instid1(SALU_CYCLE_1)
	s_lshl_b32 s41, s41, 2
	v_mov_b32_e32 v5, s41
	ds_bpermute_b32 v21, v5, v22
	v_dual_mov_b32 v5, 0 :: v_dual_mov_b32 v22, 0
	s_and_saveexec_b32 s41, s3
	s_cbranch_execz .LBB2_53
; %bb.52:                               ;   in Loop: Header=BB2_42 Depth=2
	v_mad_u32 v22, s29, s21, v15
	s_delay_alu instid0(VALU_DEP_1)
	v_mad_u32 v22, v22, s21, v16
	global_load_b32 v22, v22, s[8:9] scale_offset
.LBB2_53:                               ;   in Loop: Header=BB2_42 Depth=2
	s_wait_xcnt 0x0
	s_or_b32 exec_lo, exec_lo, s41
	s_delay_alu instid0(SALU_CYCLE_1)
	s_and_not1_b32 vcc_lo, exec_lo, s37
	s_wait_loadcnt 0x0
	ds_store_b32 v12, v22
	s_wait_storecnt_dscnt 0x0
	s_cbranch_vccnz .LBB2_56
; %bb.54:                               ;   in Loop: Header=BB2_42 Depth=2
	v_dual_mov_b32 v5, 0 :: v_dual_mov_b32 v22, v11
	v_mov_b32_e32 v23, v10
	s_mov_b32 s41, s21
.LBB2_55:                               ;   Parent Loop BB2_11 Depth=1
                                        ;     Parent Loop BB2_42 Depth=2
                                        ; =>    This Inner Loop Header: Depth=3
	ds_load_b32 v24, v22
	ds_load_b32 v25, v23
	v_dual_add_nc_u32 v23, 4, v23 :: v_dual_add_nc_u32 v22, 36, v22
	s_add_co_i32 s41, s41, -1
	s_delay_alu instid0(SALU_CYCLE_1)
	s_cmp_eq_u32 s41, 0
	s_wait_dscnt 0x0
	v_fmac_f32_e32 v5, v24, v25
	s_cbranch_scc0 .LBB2_55
.LBB2_56:                               ;   in Loop: Header=BB2_42 Depth=2
	s_and_saveexec_b32 s41, s3
	s_cbranch_execz .LBB2_40
; %bb.57:                               ;   in Loop: Header=BB2_42 Depth=2
	v_mad_u32 v21, v21, s21, v15
	s_delay_alu instid0(VALU_DEP_1)
	v_mad_u32 v21, v21, s21, v16
	global_load_b32 v22, v21, s[8:9] scale_offset
	s_wait_loadcnt 0x0
	v_sub_f32_e32 v5, v22, v5
	global_store_b32 v21, v5, s[8:9] scale_offset
	s_branch .LBB2_40
.LBB2_58:
	v_mov_b32_e32 v4, s34
	global_load_b32 v4, v4, s[6:7] scale_offset
	s_wait_loadcnt 0x0
	s_wait_xcnt 0x0
	v_subrev_nc_u32_e32 v4, s20, v4
	s_delay_alu instid0(VALU_DEP_1)
	v_cmp_ne_u32_e32 vcc_lo, s22, v4
	s_cbranch_vccnz .LBB2_84
; %bb.59:
	v_max_u32_e32 v4, v9, v1
	v_mov_b32_e32 v5, 0
	s_delay_alu instid0(VALU_DEP_2)
	v_cmp_gt_u32_e64 s0, s21, v4
	s_and_saveexec_b32 s1, s0
	s_cbranch_execz .LBB2_61
; %bb.60:
	s_cmp_eq_u32 s24, 0
	s_cselect_b32 vcc_lo, -1, 0
	v_cndmask_b32_e32 v4, v1, v9, vcc_lo
	v_cndmask_b32_e32 v5, v9, v1, vcc_lo
	s_delay_alu instid0(VALU_DEP_2) | instskip(NEXT) | instid1(VALU_DEP_1)
	v_mad_u32 v4, s34, s21, v4
	v_mad_u32 v4, v4, s21, v5
	global_load_b32 v5, v4, s[8:9] scale_offset
.LBB2_61:
	s_wait_xcnt 0x0
	s_or_b32 exec_lo, exec_lo, s1
	v_lshlrev_b32_e32 v11, 2, v9
	s_cmp_lt_i32 s21, 1
	s_delay_alu instid0(VALU_DEP_1)
	v_mad_u32_u24 v4, v1, 36, v11
	s_wait_loadcnt 0x0
	ds_store_b32 v4, v5
	s_wait_storecnt_dscnt 0x0
	s_cbranch_scc1 .LBB2_81
; %bb.62:
	v_cvt_f64_f32_e32 v[12:13], s35
	v_or_b32_e32 v14, v9, v1
	s_cmp_eq_u64 s[12:13], 8
	v_cmp_eq_u32_e64 s1, 0, v1
	s_cselect_b32 vcc_lo, -1, 0
	v_add3_u32 v5, v10, v11, 40
	v_mad_u32_u24 v6, v1, 36, 36
	v_dual_add_nc_u32 v7, 1, v9 :: v_dual_add_nc_u32 v11, 4, v11
	v_cmp_eq_u32_e64 s2, 0, v14
	s_mov_b32 s3, 0
	s_mov_b32 s4, s21
	;; [unrolled: 1-line block ×3, first 2 shown]
	v_dual_cndmask_b32 v3, v13, v3 :: v_dual_cndmask_b32 v2, v12, v2
	v_mov_b32_e32 v12, v8
.LBB2_63:                               ; =>This Inner Loop Header: Depth=1
	v_mov_b32_e32 v13, s3
	s_and_not1_b32 vcc_lo, exec_lo, s31
	s_mov_b32 s7, 0
	s_mov_b32 s10, -1
	ds_load_b32 v13, v13
	s_wait_dscnt 0x0
	v_readfirstlane_b32 s6, v13
                                        ; implicit-def: $vgpr13
	s_cbranch_vccz .LBB2_70
; %bb.64:                               ;   in Loop: Header=BB2_63 Depth=1
	s_and_not1_b32 vcc_lo, exec_lo, s10
	s_mov_b32 s10, 0
	s_cbranch_vccz .LBB2_73
.LBB2_65:                               ;   in Loop: Header=BB2_63 Depth=1
	s_and_not1_b32 vcc_lo, exec_lo, s7
                                        ; implicit-def: $sgpr6
	s_cbranch_vccz .LBB2_74
.LBB2_66:                               ;   in Loop: Header=BB2_63 Depth=1
	s_and_not1_b32 vcc_lo, exec_lo, s10
	s_cbranch_vccnz .LBB2_68
.LBB2_67:                               ;   in Loop: Header=BB2_63 Depth=1
	s_add_co_i32 s6, s5, 1
	s_mov_b32 s30, -1
.LBB2_68:                               ;   in Loop: Header=BB2_63 Depth=1
	v_dual_add_nc_u32 v5, 40, v5 :: v_dual_add_nc_u32 v6, 40, v6
	v_dual_add_nc_u32 v12, 1, v12 :: v_dual_add_nc_u32 v7, 1, v7
	v_add_nc_u32_e32 v11, 40, v11
	s_add_co_i32 s4, s4, -1
	s_add_co_i32 s3, s3, 40
	s_cmp_eq_u32 s4, 0
	s_cbranch_scc1 .LBB2_81
; %bb.69:                               ;   in Loop: Header=BB2_63 Depth=1
	s_mov_b32 s5, s6
	s_branch .LBB2_63
.LBB2_70:                               ;   in Loop: Header=BB2_63 Depth=1
	s_xor_b32 s7, s6, 0x80000000
	s_cmp_lt_f32 s6, 0
	v_mov_b32_e32 v13, s33
	s_cselect_b32 s7, s7, s6
	s_delay_alu instid0(SALU_CYCLE_1) | instskip(NEXT) | instid1(VALU_DEP_1)
	v_cvt_f64_f32_e32 v[14:15], s7
	v_cmp_ge_f64_e32 vcc_lo, v[2:3], v[14:15]
	s_delay_alu instid0(VALU_DEP_3)
	v_cndmask_b32_e32 v13, s6, v13, vcc_lo
	s_and_saveexec_b32 s7, s2
; %bb.71:                               ;   in Loop: Header=BB2_63 Depth=1
	v_mov_b32_e32 v14, s3
	ds_store_b32 v14, v13
; %bb.72:                               ;   in Loop: Header=BB2_63 Depth=1
	s_or_b32 exec_lo, exec_lo, s7
	s_mov_b32 s7, -1
	s_mov_b32 s10, 0
	s_cbranch_execnz .LBB2_65
.LBB2_73:                               ;   in Loop: Header=BB2_63 Depth=1
	s_cmp_neq_f32 s6, 0
	v_mov_b32_e32 v13, s6
	s_mov_b32 s10, -1
	s_cselect_b32 s7, -1, 0
	s_delay_alu instid0(SALU_CYCLE_1)
	s_and_not1_b32 vcc_lo, exec_lo, s7
                                        ; implicit-def: $sgpr6
	s_cbranch_vccnz .LBB2_66
.LBB2_74:                               ;   in Loop: Header=BB2_63 Depth=1
	s_mov_b32 s6, exec_lo
	v_cmpx_gt_i32_e64 s21, v7
	s_cbranch_execz .LBB2_79
; %bb.75:                               ;   in Loop: Header=BB2_63 Depth=1
	ds_load_b32 v14, v11
	s_wait_dscnt 0x0
	v_div_scale_f32 v15, null, v13, v13, v14
	s_delay_alu instid0(VALU_DEP_1) | instskip(SKIP_1) | instid1(TRANS32_DEP_1)
	v_rcp_f32_e32 v16, v15
	v_nop
	v_fma_f32 v17, -v15, v16, 1.0
	s_delay_alu instid0(VALU_DEP_1) | instskip(SKIP_1) | instid1(VALU_DEP_1)
	v_fmac_f32_e32 v16, v17, v16
	v_div_scale_f32 v17, vcc_lo, v14, v13, v14
	v_mul_f32_e32 v18, v17, v16
	s_delay_alu instid0(VALU_DEP_1) | instskip(NEXT) | instid1(VALU_DEP_1)
	v_fma_f32 v19, -v15, v18, v17
	v_fmac_f32_e32 v18, v19, v16
	s_delay_alu instid0(VALU_DEP_1) | instskip(NEXT) | instid1(VALU_DEP_1)
	v_fma_f32 v15, -v15, v18, v17
	v_div_fmas_f32 v15, v15, v16, v18
	s_delay_alu instid0(VALU_DEP_1)
	v_div_fixup_f32 v13, v15, v13, v14
	s_and_saveexec_b32 s7, s1
; %bb.76:                               ;   in Loop: Header=BB2_63 Depth=1
	ds_store_b32 v11, v13
; %bb.77:                               ;   in Loop: Header=BB2_63 Depth=1
	s_or_b32 exec_lo, exec_lo, s7
	v_cmp_gt_i32_e32 vcc_lo, s21, v12
	s_and_b32 exec_lo, exec_lo, vcc_lo
	s_cbranch_execz .LBB2_79
; %bb.78:                               ;   in Loop: Header=BB2_63 Depth=1
	ds_load_b32 v14, v6
	ds_load_b32 v15, v5
	s_wait_dscnt 0x0
	v_fma_f32 v13, -v13, v14, v15
	ds_store_b32 v5, v13
.LBB2_79:                               ;   in Loop: Header=BB2_63 Depth=1
	s_or_b32 exec_lo, exec_lo, s6
	s_add_co_i32 s6, s5, 1
	s_cbranch_execz .LBB2_67
	s_branch .LBB2_68
.LBB2_80:
	s_mov_b32 s30, -1
	s_branch .LBB2_108
.LBB2_81:
	s_wait_dscnt 0x0
	s_and_saveexec_b32 s1, s0
	s_cbranch_execz .LBB2_83
; %bb.82:
	s_cmp_eq_u32 s24, 0
	ds_load_b32 v3, v4
	s_cselect_b32 vcc_lo, -1, 0
	v_cndmask_b32_e32 v2, v1, v9, vcc_lo
	v_cndmask_b32_e32 v4, v9, v1, vcc_lo
	s_delay_alu instid0(VALU_DEP_2) | instskip(NEXT) | instid1(VALU_DEP_1)
	v_mad_u32 v2, s34, s21, v2
	v_mad_u32 v2, v2, s21, v4
	s_wait_dscnt 0x0
	global_store_b32 v2, v3, s[8:9] scale_offset
.LBB2_83:
	s_wait_xcnt 0x0
	s_or_b32 exec_lo, exec_lo, s1
.LBB2_84:
	s_add_co_i32 s1, s34, 1
	s_delay_alu instid0(SALU_CYCLE_1)
	s_cmp_ge_i32 s1, s23
	s_cbranch_scc1 .LBB2_108
; %bb.85:
	s_cmp_eq_u32 s24, 0
	s_wait_dscnt 0x0
	v_max_u32_e32 v3, v9, v1
	s_cselect_b32 vcc_lo, -1, 0
	v_lshlrev_b32_e32 v2, 2, v9
	s_cmp_gt_i32 s21, 0
	v_dual_cndmask_b32 v4, v9, v1 :: v_dual_lshlrev_b32 v5, 2, v1
	v_cmp_gt_u32_e64 s0, s21, v3
	v_cndmask_b32_e32 v3, v1, v9, vcc_lo
	v_add3_u32 v2, v10, v2, 0x120
	v_mul_u32_u24_e32 v10, 36, v9
	s_cselect_b32 s2, -1, 0
	s_add_co_i32 s4, s21, -1
	s_and_b32 s3, s21, 3
	s_cmp_gt_u32 s4, 2
	v_mad_u32_u24 v6, v9, 36, 0x120
	s_cselect_b32 s4, -1, 0
	s_and_b32 s5, s21, 0x7ffffffc
	v_add_nc_u32_e32 v7, 4, v5
	v_add3_u32 v9, v10, v5, 0x124
	s_cmp_lg_u32 s3, 0
	s_cselect_b32 s6, -1, 0
	s_branch .LBB2_87
.LBB2_86:                               ;   in Loop: Header=BB2_87 Depth=1
	s_wait_xcnt 0x0
	s_or_b32 exec_lo, exec_lo, s7
	s_add_co_i32 s1, s1, 1
	s_delay_alu instid0(SALU_CYCLE_1)
	s_cmp_lt_i32 s1, s23
	s_cbranch_scc0 .LBB2_108
.LBB2_87:                               ; =>This Loop Header: Depth=1
                                        ;     Child Loop BB2_93 Depth 2
                                        ;     Child Loop BB2_104 Depth 2
	v_mad_u32 v10, s1, s21, v3
	v_mov_b32_e32 v11, 0
	s_wait_storecnt 0x0
	s_delay_alu instid0(VALU_DEP_2)
	v_mad_u32 v10, v10, s21, v4
	s_and_saveexec_b32 s7, s0
	s_cbranch_execz .LBB2_89
; %bb.88:                               ;   in Loop: Header=BB2_87 Depth=1
	global_load_b32 v11, v10, s[8:9] scale_offset
.LBB2_89:                               ;   in Loop: Header=BB2_87 Depth=1
	s_wait_xcnt 0x0
	s_or_b32 exec_lo, exec_lo, s7
	s_delay_alu instid0(SALU_CYCLE_1)
	s_and_not1_b32 vcc_lo, exec_lo, s2
	s_wait_loadcnt 0x0
	ds_store_b32 v2, v11
	s_wait_dscnt 0x0
	s_cbranch_vccnz .LBB2_106
; %bb.90:                               ;   in Loop: Header=BB2_87 Depth=1
	s_and_not1_b32 vcc_lo, exec_lo, s4
	s_mov_b32 s11, 0
	s_cbranch_vccnz .LBB2_101
; %bb.91:                               ;   in Loop: Header=BB2_87 Depth=1
	v_mov_b32_e32 v11, v6
	s_mov_b32 s7, 0
	s_mov_b32 s10, 4
	s_branch .LBB2_93
.LBB2_92:                               ;   in Loop: Header=BB2_93 Depth=2
	s_or_b32 exec_lo, exec_lo, s11
	v_add_nc_u32_e32 v11, 16, v11
	s_add_co_i32 s7, s7, 4
	s_addk_co_i32 s10, 0xa0
	s_cmp_eq_u32 s5, s7
	s_mov_b32 s11, s5
	s_cbranch_scc1 .LBB2_101
.LBB2_93:                               ;   Parent Loop BB2_87 Depth=1
                                        ; =>  This Inner Loop Header: Depth=2
	v_add_nc_u32_e32 v14, s7, v1
	s_delay_alu instid0(VALU_DEP_1) | instskip(NEXT) | instid1(VALU_DEP_1)
	v_dual_add_nc_u32 v13, s10, v5 :: v_dual_add_nc_u32 v12, 1, v14
	v_cmp_gt_i32_e32 vcc_lo, s21, v12
	v_add_nc_u32_e32 v12, v11, v5
	s_and_saveexec_b32 s11, vcc_lo
	s_cbranch_execz .LBB2_95
; %bb.94:                               ;   in Loop: Header=BB2_93 Depth=2
	ds_load_b32 v15, v13
	ds_load_b32 v16, v11
	ds_load_b32 v17, v12 offset:4
	s_wait_dscnt 0x0
	v_fma_f32 v15, -v15, v16, v17
	ds_store_b32 v12, v15 offset:4
.LBB2_95:                               ;   in Loop: Header=BB2_93 Depth=2
	s_or_b32 exec_lo, exec_lo, s11
	v_add_nc_u32_e32 v15, 2, v14
	s_mov_b32 s11, exec_lo
	s_delay_alu instid0(VALU_DEP_1)
	v_cmpx_gt_i32_e64 s21, v15
	s_cbranch_execz .LBB2_97
; %bb.96:                               ;   in Loop: Header=BB2_93 Depth=2
	ds_load_b32 v15, v13 offset:40
	ds_load_b32 v16, v11 offset:4
	ds_load_b32 v17, v12 offset:8
	s_wait_dscnt 0x0
	v_fma_f32 v15, -v15, v16, v17
	ds_store_b32 v12, v15 offset:8
.LBB2_97:                               ;   in Loop: Header=BB2_93 Depth=2
	s_or_b32 exec_lo, exec_lo, s11
	v_add_nc_u32_e32 v15, 3, v14
	s_mov_b32 s11, exec_lo
	s_delay_alu instid0(VALU_DEP_1)
	v_cmpx_gt_i32_e64 s21, v15
	s_cbranch_execz .LBB2_99
; %bb.98:                               ;   in Loop: Header=BB2_93 Depth=2
	ds_load_b32 v15, v13 offset:80
	ds_load_b32 v16, v11 offset:8
	;; [unrolled: 1-line block ×3, first 2 shown]
	s_wait_dscnt 0x0
	v_fma_f32 v15, -v15, v16, v17
	ds_store_b32 v12, v15 offset:12
.LBB2_99:                               ;   in Loop: Header=BB2_93 Depth=2
	s_or_b32 exec_lo, exec_lo, s11
	v_add_nc_u32_e32 v14, 4, v14
	s_mov_b32 s11, exec_lo
	s_delay_alu instid0(VALU_DEP_1)
	v_cmpx_gt_i32_e64 s21, v14
	s_cbranch_execz .LBB2_92
; %bb.100:                              ;   in Loop: Header=BB2_93 Depth=2
	ds_load_b32 v13, v13 offset:120
	ds_load_b32 v14, v11 offset:12
	;; [unrolled: 1-line block ×3, first 2 shown]
	s_wait_dscnt 0x0
	v_fma_f32 v13, -v13, v14, v15
	ds_store_b32 v12, v13 offset:16
	s_branch .LBB2_92
.LBB2_101:                              ;   in Loop: Header=BB2_87 Depth=1
	s_and_not1_b32 vcc_lo, exec_lo, s6
	s_cbranch_vccnz .LBB2_106
; %bb.102:                              ;   in Loop: Header=BB2_87 Depth=1
	v_mad_u32 v11, s11, 40, v7
	s_lshl_b32 s7, s11, 2
	s_delay_alu instid0(SALU_CYCLE_1)
	v_dual_add_nc_u32 v14, s11, v8 :: v_dual_add_nc_u32 v12, s7, v9
	v_add_nc_u32_e32 v13, s7, v6
	s_mov_b32 s7, s3
	s_branch .LBB2_104
.LBB2_103:                              ;   in Loop: Header=BB2_104 Depth=2
	s_or_b32 exec_lo, exec_lo, s10
	s_delay_alu instid0(VALU_DEP_4) | instskip(SKIP_2) | instid1(SALU_CYCLE_1)
	v_dual_add_nc_u32 v11, 40, v11 :: v_dual_add_nc_u32 v12, 4, v12
	v_dual_add_nc_u32 v13, 4, v13 :: v_dual_add_nc_u32 v14, 1, v14
	s_add_co_i32 s7, s7, -1
	s_cmp_lg_u32 s7, 0
	s_cbranch_scc0 .LBB2_106
.LBB2_104:                              ;   Parent Loop BB2_87 Depth=1
                                        ; =>  This Inner Loop Header: Depth=2
	s_mov_b32 s10, exec_lo
	v_cmpx_gt_i32_e64 s21, v14
	s_cbranch_execz .LBB2_103
; %bb.105:                              ;   in Loop: Header=BB2_104 Depth=2
	ds_load_b32 v15, v11
	ds_load_b32 v16, v13
	ds_load_b32 v17, v12
	s_wait_dscnt 0x0
	v_fma_f32 v15, -v15, v16, v17
	ds_store_b32 v12, v15
	s_branch .LBB2_103
.LBB2_106:                              ;   in Loop: Header=BB2_87 Depth=1
	s_wait_dscnt 0x0
	s_and_saveexec_b32 s7, s0
	s_cbranch_execz .LBB2_86
; %bb.107:                              ;   in Loop: Header=BB2_87 Depth=1
	ds_load_b32 v11, v2
	s_wait_dscnt 0x0
	global_store_b32 v10, v11, s[8:9] scale_offset
	s_branch .LBB2_86
.LBB2_108:
	v_and_b32_e32 v0, 0xfffff, v0
	s_mov_b32 s0, exec_lo
	s_delay_alu instid0(VALU_DEP_1)
	v_cmpx_eq_u32_e32 0, v0
	s_cbranch_execz .LBB2_112
; %bb.109:
	v_dual_mov_b32 v0, 0 :: v_dual_mov_b32 v1, 1
	s_add_nc_u64 s[0:1], s[16:17], s[18:19]
	s_and_not1_b32 vcc_lo, exec_lo, s30
	global_wb scope:SCOPE_DEV
	s_wait_storecnt 0x0
	s_wait_loadcnt_dscnt 0x0
	global_store_b32 v0, v1, s[0:1] scope:SCOPE_DEV
	s_cbranch_vccnz .LBB2_112
; %bb.110:
	s_wait_xcnt 0x0
	v_mbcnt_lo_u32_b32 v0, exec_lo, 0
	s_delay_alu instid0(VALU_DEP_1)
	v_cmp_eq_u32_e32 vcc_lo, 0, v0
	s_and_b32 exec_lo, exec_lo, vcc_lo
	s_cbranch_execz .LBB2_112
; %bb.111:
	s_add_co_i32 s0, s22, s20
	s_delay_alu instid0(SALU_CYCLE_1)
	v_dual_mov_b32 v0, 0 :: v_dual_mov_b32 v1, s0
	global_atomic_min_i32 v0, v1, s[14:15] scope:SCOPE_DEV
.LBB2_112:
	s_endpgm
	.section	.rodata,"a",@progbits
	.p2align	6, 0x0
	.amdhsa_kernel _ZN9rocsparseL11bsrilu0_2_8ILj64ELj64ELj8EfEEv20rocsparse_direction_iPKiS3_PT2_S3_iPiS3_S6_21rocsparse_index_base_imNS_24const_host_device_scalarIfEENS8_IdEENS8_IS4_EEb
		.amdhsa_group_segment_fixed_size 576
		.amdhsa_private_segment_fixed_size 0
		.amdhsa_kernarg_size 376
		.amdhsa_user_sgpr_count 2
		.amdhsa_user_sgpr_dispatch_ptr 0
		.amdhsa_user_sgpr_queue_ptr 0
		.amdhsa_user_sgpr_kernarg_segment_ptr 1
		.amdhsa_user_sgpr_dispatch_id 0
		.amdhsa_user_sgpr_kernarg_preload_length 0
		.amdhsa_user_sgpr_kernarg_preload_offset 0
		.amdhsa_user_sgpr_private_segment_size 0
		.amdhsa_wavefront_size32 1
		.amdhsa_uses_dynamic_stack 0
		.amdhsa_enable_private_segment 0
		.amdhsa_system_sgpr_workgroup_id_x 1
		.amdhsa_system_sgpr_workgroup_id_y 0
		.amdhsa_system_sgpr_workgroup_id_z 0
		.amdhsa_system_sgpr_workgroup_info 0
		.amdhsa_system_vgpr_workitem_id 1
		.amdhsa_next_free_vgpr 28
		.amdhsa_next_free_sgpr 44
		.amdhsa_named_barrier_count 0
		.amdhsa_reserve_vcc 1
		.amdhsa_float_round_mode_32 0
		.amdhsa_float_round_mode_16_64 0
		.amdhsa_float_denorm_mode_32 3
		.amdhsa_float_denorm_mode_16_64 3
		.amdhsa_fp16_overflow 0
		.amdhsa_memory_ordered 1
		.amdhsa_forward_progress 1
		.amdhsa_inst_pref_size 31
		.amdhsa_round_robin_scheduling 0
		.amdhsa_exception_fp_ieee_invalid_op 0
		.amdhsa_exception_fp_denorm_src 0
		.amdhsa_exception_fp_ieee_div_zero 0
		.amdhsa_exception_fp_ieee_overflow 0
		.amdhsa_exception_fp_ieee_underflow 0
		.amdhsa_exception_fp_ieee_inexact 0
		.amdhsa_exception_int_div_zero 0
	.end_amdhsa_kernel
	.section	.text._ZN9rocsparseL11bsrilu0_2_8ILj64ELj64ELj8EfEEv20rocsparse_direction_iPKiS3_PT2_S3_iPiS3_S6_21rocsparse_index_base_imNS_24const_host_device_scalarIfEENS8_IdEENS8_IS4_EEb,"axG",@progbits,_ZN9rocsparseL11bsrilu0_2_8ILj64ELj64ELj8EfEEv20rocsparse_direction_iPKiS3_PT2_S3_iPiS3_S6_21rocsparse_index_base_imNS_24const_host_device_scalarIfEENS8_IdEENS8_IS4_EEb,comdat
.Lfunc_end2:
	.size	_ZN9rocsparseL11bsrilu0_2_8ILj64ELj64ELj8EfEEv20rocsparse_direction_iPKiS3_PT2_S3_iPiS3_S6_21rocsparse_index_base_imNS_24const_host_device_scalarIfEENS8_IdEENS8_IS4_EEb, .Lfunc_end2-_ZN9rocsparseL11bsrilu0_2_8ILj64ELj64ELj8EfEEv20rocsparse_direction_iPKiS3_PT2_S3_iPiS3_S6_21rocsparse_index_base_imNS_24const_host_device_scalarIfEENS8_IdEENS8_IS4_EEb
                                        ; -- End function
	.set _ZN9rocsparseL11bsrilu0_2_8ILj64ELj64ELj8EfEEv20rocsparse_direction_iPKiS3_PT2_S3_iPiS3_S6_21rocsparse_index_base_imNS_24const_host_device_scalarIfEENS8_IdEENS8_IS4_EEb.num_vgpr, 28
	.set _ZN9rocsparseL11bsrilu0_2_8ILj64ELj64ELj8EfEEv20rocsparse_direction_iPKiS3_PT2_S3_iPiS3_S6_21rocsparse_index_base_imNS_24const_host_device_scalarIfEENS8_IdEENS8_IS4_EEb.num_agpr, 0
	.set _ZN9rocsparseL11bsrilu0_2_8ILj64ELj64ELj8EfEEv20rocsparse_direction_iPKiS3_PT2_S3_iPiS3_S6_21rocsparse_index_base_imNS_24const_host_device_scalarIfEENS8_IdEENS8_IS4_EEb.numbered_sgpr, 44
	.set _ZN9rocsparseL11bsrilu0_2_8ILj64ELj64ELj8EfEEv20rocsparse_direction_iPKiS3_PT2_S3_iPiS3_S6_21rocsparse_index_base_imNS_24const_host_device_scalarIfEENS8_IdEENS8_IS4_EEb.num_named_barrier, 0
	.set _ZN9rocsparseL11bsrilu0_2_8ILj64ELj64ELj8EfEEv20rocsparse_direction_iPKiS3_PT2_S3_iPiS3_S6_21rocsparse_index_base_imNS_24const_host_device_scalarIfEENS8_IdEENS8_IS4_EEb.private_seg_size, 0
	.set _ZN9rocsparseL11bsrilu0_2_8ILj64ELj64ELj8EfEEv20rocsparse_direction_iPKiS3_PT2_S3_iPiS3_S6_21rocsparse_index_base_imNS_24const_host_device_scalarIfEENS8_IdEENS8_IS4_EEb.uses_vcc, 1
	.set _ZN9rocsparseL11bsrilu0_2_8ILj64ELj64ELj8EfEEv20rocsparse_direction_iPKiS3_PT2_S3_iPiS3_S6_21rocsparse_index_base_imNS_24const_host_device_scalarIfEENS8_IdEENS8_IS4_EEb.uses_flat_scratch, 0
	.set _ZN9rocsparseL11bsrilu0_2_8ILj64ELj64ELj8EfEEv20rocsparse_direction_iPKiS3_PT2_S3_iPiS3_S6_21rocsparse_index_base_imNS_24const_host_device_scalarIfEENS8_IdEENS8_IS4_EEb.has_dyn_sized_stack, 0
	.set _ZN9rocsparseL11bsrilu0_2_8ILj64ELj64ELj8EfEEv20rocsparse_direction_iPKiS3_PT2_S3_iPiS3_S6_21rocsparse_index_base_imNS_24const_host_device_scalarIfEENS8_IdEENS8_IS4_EEb.has_recursion, 0
	.set _ZN9rocsparseL11bsrilu0_2_8ILj64ELj64ELj8EfEEv20rocsparse_direction_iPKiS3_PT2_S3_iPiS3_S6_21rocsparse_index_base_imNS_24const_host_device_scalarIfEENS8_IdEENS8_IS4_EEb.has_indirect_call, 0
	.section	.AMDGPU.csdata,"",@progbits
; Kernel info:
; codeLenInByte = 3908
; TotalNumSgprs: 46
; NumVgprs: 28
; ScratchSize: 0
; MemoryBound: 0
; FloatMode: 240
; IeeeMode: 1
; LDSByteSize: 576 bytes/workgroup (compile time only)
; SGPRBlocks: 0
; VGPRBlocks: 1
; NumSGPRsForWavesPerEU: 46
; NumVGPRsForWavesPerEU: 28
; NamedBarCnt: 0
; Occupancy: 16
; WaveLimiterHint : 1
; COMPUTE_PGM_RSRC2:SCRATCH_EN: 0
; COMPUTE_PGM_RSRC2:USER_SGPR: 2
; COMPUTE_PGM_RSRC2:TRAP_HANDLER: 0
; COMPUTE_PGM_RSRC2:TGID_X_EN: 1
; COMPUTE_PGM_RSRC2:TGID_Y_EN: 0
; COMPUTE_PGM_RSRC2:TGID_Z_EN: 0
; COMPUTE_PGM_RSRC2:TIDIG_COMP_CNT: 1
	.section	.text._ZN9rocsparseL12bsrilu0_9_32ILj64ELj64ELj16EfEEv20rocsparse_direction_iPKiS3_PT2_S3_iPiS3_S6_21rocsparse_index_base_imNS_24const_host_device_scalarIfEENS8_IdEENS8_IS4_EEb,"axG",@progbits,_ZN9rocsparseL12bsrilu0_9_32ILj64ELj64ELj16EfEEv20rocsparse_direction_iPKiS3_PT2_S3_iPiS3_S6_21rocsparse_index_base_imNS_24const_host_device_scalarIfEENS8_IdEENS8_IS4_EEb,comdat
	.globl	_ZN9rocsparseL12bsrilu0_9_32ILj64ELj64ELj16EfEEv20rocsparse_direction_iPKiS3_PT2_S3_iPiS3_S6_21rocsparse_index_base_imNS_24const_host_device_scalarIfEENS8_IdEENS8_IS4_EEb ; -- Begin function _ZN9rocsparseL12bsrilu0_9_32ILj64ELj64ELj16EfEEv20rocsparse_direction_iPKiS3_PT2_S3_iPiS3_S6_21rocsparse_index_base_imNS_24const_host_device_scalarIfEENS8_IdEENS8_IS4_EEb
	.p2align	8
	.type	_ZN9rocsparseL12bsrilu0_9_32ILj64ELj64ELj16EfEEv20rocsparse_direction_iPKiS3_PT2_S3_iPiS3_S6_21rocsparse_index_base_imNS_24const_host_device_scalarIfEENS8_IdEENS8_IS4_EEb,@function
_ZN9rocsparseL12bsrilu0_9_32ILj64ELj64ELj16EfEEv20rocsparse_direction_iPKiS3_PT2_S3_iPiS3_S6_21rocsparse_index_base_imNS_24const_host_device_scalarIfEENS8_IdEENS8_IS4_EEb: ; @_ZN9rocsparseL12bsrilu0_9_32ILj64ELj64ELj16EfEEv20rocsparse_direction_iPKiS3_PT2_S3_iPiS3_S6_21rocsparse_index_base_imNS_24const_host_device_scalarIfEENS8_IdEENS8_IS4_EEb
; %bb.0:
	s_clause 0x2
	s_load_b32 s2, s[0:1], 0x70
	s_load_b64 s[14:15], s[0:1], 0x48
	s_load_b256 s[24:31], s[0:1], 0x50
	s_wait_kmcnt 0x0
	s_bitcmp1_b32 s2, 0
	s_cselect_b32 s2, -1, 0
	s_cmp_eq_u32 s15, 0
	s_cselect_b32 s4, -1, 0
	s_cmp_lg_u32 s15, 0
	s_cselect_b32 s38, -1, 0
	s_or_b32 s6, s4, s2
	s_delay_alu instid0(SALU_CYCLE_1)
	s_xor_b32 s5, s6, -1
	s_and_b32 s2, s4, exec_lo
	s_cselect_b32 s3, 0, s29
	s_cselect_b32 s2, 0, s28
	s_cselect_b32 s40, 0, s26
	s_and_b32 vcc_lo, exec_lo, s6
	s_cbranch_vccnz .LBB3_2
; %bb.1:
	s_load_b32 s40, s[26:27], 0x0
	s_mov_b64 s[2:3], s[28:29]
.LBB3_2:
	s_delay_alu instid0(SALU_CYCLE_1)
	v_mov_b64_e32 v[2:3], s[2:3]
	v_cndmask_b32_e64 v1, 0, 1, s5
	s_and_not1_b32 vcc_lo, exec_lo, s5
	s_cbranch_vccnz .LBB3_4
; %bb.3:
	v_mov_b32_e32 v2, 0
	flat_load_b64 v[2:3], v2, s[28:29]
.LBB3_4:
	s_delay_alu instid0(VALU_DEP_1)
	v_cmp_ne_u32_e32 vcc_lo, 1, v1
	s_and_b32 s2, s4, exec_lo
	s_cselect_b32 s39, 0, s30
	s_cbranch_vccnz .LBB3_6
; %bb.5:
	s_load_b32 s39, s[30:31], 0x0
.LBB3_6:
	s_wait_xcnt 0x0
	s_load_b128 s[28:31], s[0:1], 0x30
	s_bfe_u32 s2, ttmp6, 0x4000c
	s_and_b32 s3, ttmp6, 15
	s_add_co_i32 s2, s2, 1
	s_getreg_b32 s4, hwreg(HW_REG_IB_STS2, 6, 4)
	s_mul_i32 s2, ttmp9, s2
	s_delay_alu instid0(SALU_CYCLE_1)
	s_add_co_i32 s3, s3, s2
	s_cmp_eq_u32 s4, 0
	s_cselect_b32 s2, ttmp9, s3
	s_load_b64 s[26:27], s[0:1], 0x40
	s_wait_kmcnt 0x0
	s_load_b32 s34, s[30:31], s2 offset:0x0 scale_offset
	s_load_b256 s[16:23], s[0:1], 0x8
	s_wait_kmcnt 0x0
	s_ashr_i32 s35, s34, 31
	s_delay_alu instid0(SALU_CYCLE_1) | instskip(NEXT) | instid1(SALU_CYCLE_1)
	s_lshl_b64 s[30:31], s[34:35], 2
	s_add_nc_u64 s[2:3], s[22:23], s[30:31]
	s_load_b32 s35, s[2:3], 0x0
	s_wait_kmcnt 0x0
	s_cmp_eq_u32 s35, -1
	s_cbranch_scc1 .LBB3_143
; %bb.7:
	s_add_nc_u64 s[2:3], s[16:17], s[30:31]
	s_mov_b32 s33, 0
	s_load_b64 s[4:5], s[2:3], 0x0
	s_clause 0x1
	s_load_b64 s[36:37], s[0:1], 0x0
	s_load_b32 s13, s[0:1], 0x28
	s_wait_kmcnt 0x0
	s_sub_co_i32 s41, s4, s14
	s_sub_co_i32 s15, s5, s14
	s_cmp_ge_i32 s41, s35
	s_cbranch_scc1 .LBB3_125
; %bb.8:
	v_bfe_u32 v4, v0, 10, 10
	v_and_b32_e32 v13, 0x3ff, v0
	s_cmp_lg_u32 s36, 0
	s_mov_b32 s44, s13
	s_cselect_b32 s42, -1, 0
	v_lshlrev_b32_e32 v1, 4, v4
	v_xad_u32 v5, v4, -1, s13
	v_dual_lshlrev_b32 v17, 2, v13 :: v_dual_sub_nc_u32 v20, -2, v4
	s_cmp_eq_u32 s36, 0
	s_delay_alu instid0(VALU_DEP_3) | instskip(NEXT) | instid1(VALU_DEP_3)
	v_add3_u32 v6, v1, v13, s41
	v_dual_lshrrev_b32 v1, 2, v5 :: v_dual_add_nc_u32 v16, 1, v4
	s_delay_alu instid0(VALU_DEP_3) | instskip(SKIP_1) | instid1(VALU_DEP_3)
	v_add_nc_u32_e32 v21, 0x440, v17
	v_mad_u32_u24 v23, 0x44, v4, v17
	v_dual_ashrrev_i32 v7, 31, v6 :: v_dual_add_nc_u32 v1, 1, v1
	v_add_nc_u32_e32 v19, 5, v4
	v_cmp_gt_i32_e64 s0, s13, v13
	v_cmp_le_i32_e64 s1, s13, v13
	s_delay_alu instid0(VALU_DEP_4)
	v_lshl_add_u64 v[8:9], v[6:7], 2, s[18:19]
	v_mad_u32 v7, s13, s41, v13
	v_and_b32_e32 v18, 0x7ffffffe, v1
	v_cmp_gt_i32_e64 s2, s13, v4
	v_cmp_eq_u32_e64 s4, 0, v4
	v_cmp_gt_i32_e64 s5, s15, v6
	v_cmp_lt_u32_e64 s6, 3, v5
	v_lshl_add_u32 v22, v18, 2, v4
	v_dual_add_nc_u32 v5, 4, v4 :: v_dual_mov_b32 v31, 0
	v_cmp_ne_u32_e64 s7, v1, v18
	v_mad_u32_u24 v24, 0x44, v4, v21
	v_mul_lo_u32 v25, s13, v7
	v_mul_lo_u32 v26, 0x44, v22
	v_mul_u32_u24_e32 v27, 0x44, v4
	v_add_nc_u32_e32 v28, 0x440, v23
	v_add_nc_u32_e32 v29, 0x484, v23
	v_mad_u32_u24 v30, 0x44, v4, 0x44
	s_cselect_b32 s3, -1, 0
	s_cmp_gt_i32 s13, 0
	s_mul_i32 s45, s13, s13
	s_cselect_b32 s43, -1, 0
	s_add_co_i32 s37, s37, 1
	s_lshl_b32 s46, s13, 4
	s_branch .LBB3_11
.LBB3_9:                                ;   in Loop: Header=BB3_11 Depth=1
	s_mov_b32 s33, -1
.LBB3_10:                               ;   in Loop: Header=BB3_11 Depth=1
	s_add_co_i32 s41, s41, 1
	v_add_nc_u32_e32 v25, s45, v25
	s_cmp_lt_i32 s41, s35
	s_cselect_b32 s9, -1, 0
	s_delay_alu instid0(SALU_CYCLE_1) | instskip(NEXT) | instid1(SALU_CYCLE_1)
	s_and_b32 s8, s8, s9
	s_and_b32 vcc_lo, exec_lo, s8
	s_cbranch_vccz .LBB3_125
.LBB3_11:                               ; =>This Loop Header: Depth=1
                                        ;     Child Loop BB3_14 Depth 2
                                        ;       Child Loop BB3_17 Depth 3
                                        ;       Child Loop BB3_24 Depth 3
                                        ;     Child Loop BB3_30 Depth 2
                                        ;     Child Loop BB3_34 Depth 2
                                        ;       Child Loop BB3_37 Depth 3
                                        ;       Child Loop BB3_44 Depth 3
                                        ;     Child Loop BB3_51 Depth 2
                                        ;       Child Loop BB3_54 Depth 3
                                        ;         Child Loop BB3_59 Depth 4
                                        ;         Child Loop BB3_63 Depth 4
                                        ;     Child Loop BB3_67 Depth 2
                                        ;       Child Loop BB3_70 Depth 3
                                        ;       Child Loop BB3_77 Depth 3
                                        ;     Child Loop BB3_86 Depth 2
                                        ;       Child Loop BB3_91 Depth 3
                                        ;       Child Loop BB3_100 Depth 3
                                        ;         Child Loop BB3_103 Depth 4
                                        ;         Child Loop BB3_110 Depth 4
                                        ;       Child Loop BB3_116 Depth 3
                                        ;         Child Loop BB3_119 Depth 4
                                        ;           Child Loop BB3_120 Depth 5
	s_wait_xcnt 0x0
	v_mov_b32_e32 v1, s41
	global_load_b32 v1, v1, s[18:19] scale_offset
	s_wait_loadcnt 0x0
	v_readfirstlane_b32 s8, v1
	s_wait_xcnt 0x0
	s_and_saveexec_b32 s9, s0
	s_cbranch_execz .LBB3_28
; %bb.12:                               ;   in Loop: Header=BB3_11 Depth=1
	v_dual_mov_b32 v11, v21 :: v_dual_mov_b32 v32, v25
	v_dual_mov_b32 v33, v28 :: v_dual_mov_b32 v10, v13
	s_mul_i32 s10, s41, s13
	s_mov_b32 s12, 0
	s_mov_b32 s11, s10
	s_branch .LBB3_14
.LBB3_13:                               ;   in Loop: Header=BB3_14 Depth=2
	s_or_b32 exec_lo, exec_lo, s47
	v_dual_add_nc_u32 v10, 16, v10 :: v_dual_add_nc_u32 v33, 64, v33
	v_dual_add_nc_u32 v32, s46, v32 :: v_dual_add_nc_u32 v11, 64, v11
	s_delay_alu instid0(VALU_DEP_2) | instskip(SKIP_1) | instid1(SALU_CYCLE_1)
	v_cmp_le_i32_e32 vcc_lo, s13, v10
	s_or_b32 s12, vcc_lo, s12
	s_and_not1_b32 exec_lo, exec_lo, s12
	s_cbranch_execz .LBB3_28
.LBB3_14:                               ;   Parent Loop BB3_11 Depth=1
                                        ; =>  This Loop Header: Depth=2
                                        ;       Child Loop BB3_17 Depth 3
                                        ;       Child Loop BB3_24 Depth 3
	s_and_saveexec_b32 s47, s2
	s_cbranch_execz .LBB3_13
; %bb.15:                               ;   in Loop: Header=BB3_14 Depth=2
	v_dual_mov_b32 v1, v4 :: v_dual_mov_b32 v7, v27
	s_mov_b32 s49, -1
	s_and_saveexec_b32 s48, s6
	s_cbranch_execz .LBB3_21
; %bb.16:                               ;   in Loop: Header=BB3_14 Depth=2
	v_dual_mov_b32 v34, v18 :: v_dual_add_nc_u32 v1, s10, v10
	v_mov_b64_e32 v[14:15], v[4:5]
	s_mov_b32 s49, 0
	v_mov_b32_e32 v35, v33
	s_delay_alu instid0(VALU_DEP_3) | instskip(NEXT) | instid1(VALU_DEP_1)
	v_mul_lo_u32 v12, v1, s13
	v_dual_mov_b32 v1, v10 :: v_dual_mov_b32 v7, v12
.LBB3_17:                               ;   Parent Loop BB3_11 Depth=1
                                        ;     Parent Loop BB3_14 Depth=2
                                        ; =>    This Inner Loop Header: Depth=3
	s_delay_alu instid0(VALU_DEP_4) | instskip(NEXT) | instid1(VALU_DEP_2)
	v_dual_add_nc_u32 v36, s10, v14 :: v_dual_add_nc_u32 v37, s11, v15
	v_dual_add_nc_u32 v38, v14, v12 :: v_dual_add_nc_u32 v39, v15, v7
	v_dual_add_nc_u32 v34, -2, v34 :: v_dual_add_nc_u32 v15, 8, v15
	s_delay_alu instid0(VALU_DEP_3) | instskip(NEXT) | instid1(VALU_DEP_4)
	v_mad_u32 v36, v36, s13, v10
	v_mad_u32 v37, v37, s44, v1
	v_add_nc_u32_e32 v14, 8, v14
	s_delay_alu instid0(VALU_DEP_4) | instskip(SKIP_1) | instid1(VALU_DEP_3)
	v_cmp_eq_u32_e32 vcc_lo, 0, v34
	s_or_b32 s49, vcc_lo, s49
	v_dual_cndmask_b32 v36, v36, v38, s3 :: v_dual_cndmask_b32 v37, v37, v39, s3
	s_clause 0x1
	global_load_b32 v38, v36, s[20:21] scale_offset
	global_load_b32 v39, v37, s[20:21] scale_offset
	s_wait_loadcnt 0x0
	ds_store_2addr_b32 v35, v38, v39 offset1:68
	v_add_nc_u32_e32 v35, 0x220, v35
	s_wait_xcnt 0x0
	s_and_not1_b32 exec_lo, exec_lo, s49
	s_cbranch_execnz .LBB3_17
; %bb.18:                               ;   in Loop: Header=BB3_14 Depth=2
	s_or_b32 exec_lo, exec_lo, s49
	s_mov_b32 s49, 0
	s_and_saveexec_b32 s50, s7
; %bb.19:                               ;   in Loop: Header=BB3_14 Depth=2
	s_mov_b32 s49, exec_lo
; %bb.20:                               ;   in Loop: Header=BB3_14 Depth=2
	s_or_b32 exec_lo, exec_lo, s50
	v_dual_mov_b32 v1, v22 :: v_dual_mov_b32 v7, v26
	s_or_not1_b32 s49, s49, exec_lo
.LBB3_21:                               ;   in Loop: Header=BB3_14 Depth=2
	s_or_b32 exec_lo, exec_lo, s48
	s_delay_alu instid0(SALU_CYCLE_1)
	s_and_b32 exec_lo, exec_lo, s49
	s_cbranch_execz .LBB3_13
; %bb.22:                               ;   in Loop: Header=BB3_14 Depth=2
	v_add_nc_u32_e32 v7, v11, v7
	s_mov_b32 s48, 0
	s_branch .LBB3_24
.LBB3_23:                               ;   in Loop: Header=BB3_24 Depth=3
	global_load_b32 v12, v12, s[20:21] scale_offset
	v_add_nc_u32_e32 v1, 4, v1
	s_delay_alu instid0(VALU_DEP_1)
	v_cmp_le_i32_e32 vcc_lo, s13, v1
	s_or_b32 s48, vcc_lo, s48
	s_wait_loadcnt 0x0
	ds_store_b32 v7, v12
	v_add_nc_u32_e32 v7, 0x110, v7
	s_wait_xcnt 0x0
	s_and_not1_b32 exec_lo, exec_lo, s48
	s_cbranch_execz .LBB3_13
.LBB3_24:                               ;   Parent Loop BB3_11 Depth=1
                                        ;     Parent Loop BB3_14 Depth=2
                                        ; =>    This Inner Loop Header: Depth=3
	s_and_b32 vcc_lo, exec_lo, s42
	s_mov_b32 s49, -1
                                        ; implicit-def: $vgpr12
	s_cbranch_vccz .LBB3_26
; %bb.25:                               ;   in Loop: Header=BB3_24 Depth=3
	v_add_nc_u32_e32 v12, s10, v1
	s_mov_b32 s49, 0
	s_delay_alu instid0(VALU_DEP_1)
	v_mad_u32 v12, v12, s13, v10
.LBB3_26:                               ;   in Loop: Header=BB3_24 Depth=3
	s_and_not1_b32 vcc_lo, exec_lo, s49
	s_cbranch_vccnz .LBB3_23
; %bb.27:                               ;   in Loop: Header=BB3_24 Depth=3
	v_add_nc_u32_e32 v12, v32, v1
	s_branch .LBB3_23
.LBB3_28:                               ;   in Loop: Header=BB3_11 Depth=1
	s_or_b32 exec_lo, exec_lo, s9
	s_sub_co_i32 s10, s8, s14
	s_delay_alu instid0(SALU_CYCLE_1)
	v_mov_b32_e32 v1, s10
	global_load_b32 v1, v1, s[22:23] scale_offset
	s_wait_loadcnt 0x0
	v_cmp_eq_u32_e32 vcc_lo, -1, v1
	v_readfirstlane_b32 s47, v1
	v_cmp_ne_u32_e64 s8, -1, v1
	s_cbranch_vccnz .LBB3_9
; %bb.29:                               ;   in Loop: Header=BB3_11 Depth=1
	s_ashr_i32 s11, s10, 31
	s_delay_alu instid0(SALU_CYCLE_1) | instskip(NEXT) | instid1(SALU_CYCLE_1)
	s_lshl_b64 s[10:11], s[10:11], 2
	s_add_nc_u64 s[48:49], s[16:17], s[10:11]
	s_add_nc_u64 s[10:11], s[28:29], s[10:11]
	global_load_b32 v1, v31, s[48:49] offset:4
	s_wait_loadcnt 0x0
	s_wait_xcnt 0x0
	v_readfirstlane_b32 s48, v1
.LBB3_30:                               ;   Parent Loop BB3_11 Depth=1
                                        ; =>  This Inner Loop Header: Depth=2
	global_load_b32 v1, v31, s[10:11] scope:SCOPE_DEV
	s_wait_loadcnt 0x0
	v_cmp_eq_u32_e32 vcc_lo, 0, v1
	s_cbranch_vccnz .LBB3_30
; %bb.31:                               ;   in Loop: Header=BB3_11 Depth=1
	s_wait_dscnt 0x0
	global_inv scope:SCOPE_DEV
	s_wait_xcnt 0x0
	s_and_saveexec_b32 s9, s0
	s_cbranch_execz .LBB3_48
; %bb.32:                               ;   in Loop: Header=BB3_11 Depth=1
	s_mul_i32 s10, s47, s13
	v_dual_mov_b32 v33, v23 :: v_dual_mov_b32 v10, v13
	v_dual_mov_b32 v32, v17 :: v_dual_add_nc_u32 v1, s10, v13
	s_mov_b32 s11, s10
	s_mov_b32 s12, 0
	s_delay_alu instid0(VALU_DEP_1)
	v_mul_lo_u32 v11, s13, v1
	s_branch .LBB3_34
.LBB3_33:                               ;   in Loop: Header=BB3_34 Depth=2
	s_or_b32 exec_lo, exec_lo, s49
	v_dual_add_nc_u32 v10, 16, v10 :: v_dual_add_nc_u32 v33, 64, v33
	s_delay_alu instid0(VALU_DEP_2) | instskip(NEXT) | instid1(VALU_DEP_2)
	v_dual_add_nc_u32 v11, s46, v11 :: v_dual_add_nc_u32 v32, 64, v32
	v_cmp_le_i32_e32 vcc_lo, s13, v10
	s_or_b32 s12, vcc_lo, s12
	s_delay_alu instid0(SALU_CYCLE_1)
	s_and_not1_b32 exec_lo, exec_lo, s12
	s_cbranch_execz .LBB3_48
.LBB3_34:                               ;   Parent Loop BB3_11 Depth=1
                                        ; =>  This Loop Header: Depth=2
                                        ;       Child Loop BB3_37 Depth 3
                                        ;       Child Loop BB3_44 Depth 3
	s_and_saveexec_b32 s49, s2
	s_cbranch_execz .LBB3_33
; %bb.35:                               ;   in Loop: Header=BB3_34 Depth=2
	v_dual_mov_b32 v1, v4 :: v_dual_mov_b32 v7, v27
	s_mov_b32 s51, -1
	s_and_saveexec_b32 s50, s6
	s_cbranch_execz .LBB3_41
; %bb.36:                               ;   in Loop: Header=BB3_34 Depth=2
	v_dual_mov_b32 v34, v18 :: v_dual_add_nc_u32 v1, s10, v10
	v_mov_b64_e32 v[14:15], v[4:5]
	s_mov_b32 s51, 0
	v_mov_b32_e32 v35, v33
	s_delay_alu instid0(VALU_DEP_3) | instskip(NEXT) | instid1(VALU_DEP_1)
	v_mul_lo_u32 v12, v1, s13
	v_dual_mov_b32 v1, v10 :: v_dual_mov_b32 v7, v12
.LBB3_37:                               ;   Parent Loop BB3_11 Depth=1
                                        ;     Parent Loop BB3_34 Depth=2
                                        ; =>    This Inner Loop Header: Depth=3
	s_delay_alu instid0(VALU_DEP_4) | instskip(NEXT) | instid1(VALU_DEP_2)
	v_dual_add_nc_u32 v36, s10, v14 :: v_dual_add_nc_u32 v37, s11, v15
	v_dual_add_nc_u32 v38, v14, v12 :: v_dual_add_nc_u32 v39, v15, v7
	v_dual_add_nc_u32 v34, -2, v34 :: v_dual_add_nc_u32 v15, 8, v15
	s_delay_alu instid0(VALU_DEP_3) | instskip(NEXT) | instid1(VALU_DEP_4)
	v_mad_u32 v36, v36, s13, v10
	v_mad_u32 v37, v37, s44, v1
	v_add_nc_u32_e32 v14, 8, v14
	s_delay_alu instid0(VALU_DEP_4) | instskip(SKIP_1) | instid1(VALU_DEP_3)
	v_cmp_eq_u32_e32 vcc_lo, 0, v34
	s_or_b32 s51, vcc_lo, s51
	v_dual_cndmask_b32 v36, v36, v38, s3 :: v_dual_cndmask_b32 v37, v37, v39, s3
	s_clause 0x1
	global_load_b32 v38, v36, s[20:21] scale_offset
	global_load_b32 v39, v37, s[20:21] scale_offset
	s_wait_loadcnt 0x0
	ds_store_2addr_b32 v35, v38, v39 offset1:68
	v_add_nc_u32_e32 v35, 0x220, v35
	s_wait_xcnt 0x0
	s_and_not1_b32 exec_lo, exec_lo, s51
	s_cbranch_execnz .LBB3_37
; %bb.38:                               ;   in Loop: Header=BB3_34 Depth=2
	s_or_b32 exec_lo, exec_lo, s51
	s_mov_b32 s51, 0
	s_and_saveexec_b32 s52, s7
; %bb.39:                               ;   in Loop: Header=BB3_34 Depth=2
	s_mov_b32 s51, exec_lo
; %bb.40:                               ;   in Loop: Header=BB3_34 Depth=2
	s_or_b32 exec_lo, exec_lo, s52
	v_dual_mov_b32 v1, v22 :: v_dual_mov_b32 v7, v26
	s_or_not1_b32 s51, s51, exec_lo
.LBB3_41:                               ;   in Loop: Header=BB3_34 Depth=2
	s_or_b32 exec_lo, exec_lo, s50
	s_delay_alu instid0(SALU_CYCLE_1)
	s_and_b32 exec_lo, exec_lo, s51
	s_cbranch_execz .LBB3_33
; %bb.42:                               ;   in Loop: Header=BB3_34 Depth=2
	v_add_nc_u32_e32 v7, v32, v7
	s_mov_b32 s50, 0
	s_branch .LBB3_44
.LBB3_43:                               ;   in Loop: Header=BB3_44 Depth=3
	global_load_b32 v12, v12, s[20:21] scale_offset
	v_add_nc_u32_e32 v1, 4, v1
	s_delay_alu instid0(VALU_DEP_1)
	v_cmp_le_i32_e32 vcc_lo, s13, v1
	s_or_b32 s50, vcc_lo, s50
	s_wait_loadcnt 0x0
	ds_store_b32 v7, v12
	v_add_nc_u32_e32 v7, 0x110, v7
	s_wait_xcnt 0x0
	s_and_not1_b32 exec_lo, exec_lo, s50
	s_cbranch_execz .LBB3_33
.LBB3_44:                               ;   Parent Loop BB3_11 Depth=1
                                        ;     Parent Loop BB3_34 Depth=2
                                        ; =>    This Inner Loop Header: Depth=3
	s_and_b32 vcc_lo, exec_lo, s42
	s_mov_b32 s51, -1
                                        ; implicit-def: $vgpr12
	s_cbranch_vccz .LBB3_46
; %bb.45:                               ;   in Loop: Header=BB3_44 Depth=3
	v_add_nc_u32_e32 v12, s10, v1
	s_mov_b32 s51, 0
	s_delay_alu instid0(VALU_DEP_1)
	v_mad_u32 v12, v12, s13, v10
.LBB3_46:                               ;   in Loop: Header=BB3_44 Depth=3
	s_and_not1_b32 vcc_lo, exec_lo, s51
	s_cbranch_vccnz .LBB3_43
; %bb.47:                               ;   in Loop: Header=BB3_44 Depth=3
	v_add_nc_u32_e32 v12, v11, v1
	s_branch .LBB3_43
.LBB3_48:                               ;   in Loop: Header=BB3_11 Depth=1
	s_or_b32 exec_lo, exec_lo, s9
	s_delay_alu instid0(SALU_CYCLE_1)
	s_and_not1_b32 vcc_lo, exec_lo, s43
	s_wait_loadcnt_dscnt 0x0
	s_cbranch_vccnz .LBB3_64
; %bb.49:                               ;   in Loop: Header=BB3_11 Depth=1
	v_dual_mov_b32 v1, v20 :: v_dual_mov_b32 v7, v19
	v_dual_mov_b32 v12, v30 :: v_dual_mov_b32 v14, v29
	s_mov_b32 s49, 0
	s_mov_b32 s50, 0
	s_branch .LBB3_51
.LBB3_50:                               ;   in Loop: Header=BB3_51 Depth=2
	s_or_b32 exec_lo, exec_lo, s51
	v_add_nc_u32_e32 v14, 0x44, v14
	v_add_nc_u32_e32 v12, 0x48, v12
	v_dual_add_nc_u32 v7, 1, v7 :: v_dual_add_nc_u32 v1, -1, v1
	s_add_co_i32 s50, s50, 1
	s_add_co_i32 s49, s49, 4
	s_cmp_eq_u32 s50, s13
	s_wait_dscnt 0x0
	s_cbranch_scc1 .LBB3_64
.LBB3_51:                               ;   Parent Loop BB3_11 Depth=1
                                        ; =>  This Loop Header: Depth=2
                                        ;       Child Loop BB3_54 Depth 3
                                        ;         Child Loop BB3_59 Depth 4
                                        ;         Child Loop BB3_63 Depth 4
	s_and_saveexec_b32 s51, s0
	s_cbranch_execz .LBB3_50
; %bb.52:                               ;   in Loop: Header=BB3_51 Depth=2
	v_add_max_i32_e64 v10, v19, s50, s13
	v_subrev_nc_u32_e32 v11, s50, v20
	s_mul_i32 s52, s50, 0x44
	s_lshl_b32 s9, s50, 2
	s_mov_b32 s53, 0
	s_add_co_i32 s9, s52, s9
	v_max_i32_e32 v15, s13, v7
	v_dual_mov_b32 v11, s9 :: v_dual_add_nc_u32 v10, v10, v11
	s_mov_b32 s54, 0
	s_delay_alu instid0(VALU_DEP_1)
	v_dual_add_nc_u32 v34, v15, v1 :: v_dual_lshrrev_b32 v36, 2, v10
	v_add_nc_u32_e32 v15, s50, v16
	ds_load_b32 v33, v11
	v_dual_mov_b32 v32, v21 :: v_dual_lshrrev_b32 v11, 2, v34
	v_mul_hi_u32 v40, 0x110, v36
	v_dual_mov_b32 v34, v14 :: v_dual_add_nc_u32 v39, 1, v36
	v_mul_lo_u32 v36, 0x110, v36
	s_delay_alu instid0(VALU_DEP_4) | instskip(NEXT) | instid1(VALU_DEP_3)
	v_dual_add_nc_u32 v35, s52, v24 :: v_dual_add_nc_u32 v11, 1, v11
	v_and_b32_e32 v41, 0x7ffffffc, v39
	v_cmp_gt_i32_e64 s9, s13, v15
	v_cmp_gt_u32_e64 s10, 0x4c, v10
	s_addk_co_i32 s52, 0x440
	v_and_b32_e32 v37, 0x7ffffffc, v11
	v_lshl_add_u32 v38, v41, 2, v15
	v_cmp_ne_u32_e64 s11, v39, v41
	v_cmp_ne_u32_e64 s12, 0, v40
	v_mov_b32_e32 v39, v13
	s_branch .LBB3_54
.LBB3_53:                               ;   in Loop: Header=BB3_54 Depth=3
	s_or_b32 exec_lo, exec_lo, s55
	v_dual_add_nc_u32 v39, 16, v39 :: v_dual_add_nc_u32 v34, 64, v34
	v_add_nc_u32_e32 v32, 64, v32
	s_add_co_i32 s54, s54, 1
	s_delay_alu instid0(VALU_DEP_2) | instskip(SKIP_1) | instid1(SALU_CYCLE_1)
	v_cmp_le_i32_e32 vcc_lo, s13, v39
	s_or_b32 s53, vcc_lo, s53
	s_and_not1_b32 exec_lo, exec_lo, s53
	s_cbranch_execz .LBB3_50
.LBB3_54:                               ;   Parent Loop BB3_11 Depth=1
                                        ;     Parent Loop BB3_51 Depth=2
                                        ; =>    This Loop Header: Depth=3
                                        ;         Child Loop BB3_59 Depth 4
                                        ;         Child Loop BB3_63 Depth 4
	s_delay_alu instid0(VALU_DEP_1) | instskip(SKIP_3) | instid1(VALU_DEP_1)
	v_lshl_add_u32 v10, v39, 2, s52
	ds_load_b32 v11, v10
	s_wait_dscnt 0x0
	v_div_scale_f32 v40, null, v33, v33, v11
	v_rcp_f32_e32 v41, v40
	v_nop
	s_delay_alu instid0(TRANS32_DEP_1) | instskip(NEXT) | instid1(VALU_DEP_1)
	v_fma_f32 v42, -v40, v41, 1.0
	v_fmac_f32_e32 v41, v42, v41
	v_div_scale_f32 v42, vcc_lo, v11, v33, v11
	s_delay_alu instid0(VALU_DEP_1) | instskip(NEXT) | instid1(VALU_DEP_1)
	v_mul_f32_e32 v43, v42, v41
	v_fma_f32 v44, -v40, v43, v42
	s_delay_alu instid0(VALU_DEP_1) | instskip(NEXT) | instid1(VALU_DEP_1)
	v_fmac_f32_e32 v43, v44, v41
	v_fma_f32 v40, -v40, v43, v42
	s_delay_alu instid0(VALU_DEP_1) | instskip(NEXT) | instid1(VALU_DEP_1)
	v_div_fmas_f32 v40, v40, v41, v43
	v_div_fixup_f32 v40, v40, v33, v11
	s_and_saveexec_b32 s55, s4
; %bb.55:                               ;   in Loop: Header=BB3_54 Depth=3
	ds_store_b32 v10, v40
; %bb.56:                               ;   in Loop: Header=BB3_54 Depth=3
	s_or_b32 exec_lo, exec_lo, s55
	s_and_saveexec_b32 s55, s9
	s_cbranch_execz .LBB3_53
; %bb.57:                               ;   in Loop: Header=BB3_54 Depth=3
	s_lshl_b32 s56, s54, 6
	s_mov_b32 s57, -1
	v_add3_u32 v10, v35, s56, 0x44
	s_delay_alu instid0(VALU_DEP_1) | instskip(NEXT) | instid1(VALU_DEP_1)
	v_add_nc_u32_e32 v11, v10, v36
	v_cmp_lt_u32_e32 vcc_lo, v11, v10
	v_mov_b32_e32 v10, v15
	s_or_b32 s56, vcc_lo, s12
	s_delay_alu instid0(SALU_CYCLE_1) | instskip(NEXT) | instid1(SALU_CYCLE_1)
	s_nor_b32 s58, s10, s56
	s_and_saveexec_b32 s56, s58
	s_cbranch_execz .LBB3_61
; %bb.58:                               ;   in Loop: Header=BB3_54 Depth=3
	v_xor_b32_e32 v10, 0x80000000, v40
	v_dual_mov_b32 v41, v37 :: v_dual_mov_b32 v42, v12
	s_mov_b32 s57, 0
	s_delay_alu instid0(VALU_DEP_2)
	v_dual_mov_b32 v43, v34 :: v_dual_mov_b32 v11, v10
.LBB3_59:                               ;   Parent Loop BB3_11 Depth=1
                                        ;     Parent Loop BB3_51 Depth=2
                                        ;       Parent Loop BB3_54 Depth=3
                                        ; =>      This Inner Loop Header: Depth=4
	ds_load_2addr_b32 v[44:45], v42 offset1:68
	ds_load_2addr_b32 v[46:47], v42 offset0:136 offset1:204
	ds_load_2addr_b32 v[48:49], v43 offset1:68
	ds_load_2addr_b32 v[50:51], v43 offset0:136 offset1:204
	v_add_nc_u32_e32 v41, -4, v41
	v_add_nc_u32_e32 v42, 0x440, v42
	s_delay_alu instid0(VALU_DEP_2)
	v_cmp_eq_u32_e32 vcc_lo, 0, v41
	s_or_b32 s57, vcc_lo, s57
	s_wait_dscnt 0x1
	v_pk_fma_f32 v[44:45], v[10:11], v[44:45], v[48:49]
	s_wait_dscnt 0x0
	v_pk_fma_f32 v[46:47], v[10:11], v[46:47], v[50:51]
	ds_store_2addr_b32 v43, v44, v45 offset1:68
	ds_store_2addr_b32 v43, v46, v47 offset0:136 offset1:204
	v_add_nc_u32_e32 v43, 0x440, v43
	s_and_not1_b32 exec_lo, exec_lo, s57
	s_cbranch_execnz .LBB3_59
; %bb.60:                               ;   in Loop: Header=BB3_54 Depth=3
	s_or_b32 exec_lo, exec_lo, s57
	v_mov_b32_e32 v10, v38
	s_or_not1_b32 s57, s11, exec_lo
.LBB3_61:                               ;   in Loop: Header=BB3_54 Depth=3
	s_or_b32 exec_lo, exec_lo, s56
	s_delay_alu instid0(SALU_CYCLE_1)
	s_and_b32 exec_lo, exec_lo, s57
	s_cbranch_execz .LBB3_53
; %bb.62:                               ;   in Loop: Header=BB3_54 Depth=3
	v_mul_lo_u32 v41, 0x44, v10
	s_mov_b32 s56, 0
	s_delay_alu instid0(VALU_DEP_1)
	v_dual_add_nc_u32 v11, v32, v41 :: v_dual_add_nc_u32 v41, s49, v41
.LBB3_63:                               ;   Parent Loop BB3_11 Depth=1
                                        ;     Parent Loop BB3_51 Depth=2
                                        ;       Parent Loop BB3_54 Depth=3
                                        ; =>      This Inner Loop Header: Depth=4
	ds_load_b32 v42, v41
	ds_load_b32 v43, v11
	v_add_nc_u32_e32 v10, 4, v10
	v_add_nc_u32_e32 v41, 0x110, v41
	s_delay_alu instid0(VALU_DEP_2)
	v_cmp_le_i32_e32 vcc_lo, s13, v10
	s_or_b32 s56, vcc_lo, s56
	s_wait_dscnt 0x0
	v_fma_f32 v42, -v40, v42, v43
	ds_store_b32 v11, v42
	v_add_nc_u32_e32 v11, 0x110, v11
	s_and_not1_b32 exec_lo, exec_lo, s56
	s_cbranch_execnz .LBB3_63
	s_branch .LBB3_53
.LBB3_64:                               ;   in Loop: Header=BB3_11 Depth=1
	s_and_saveexec_b32 s9, s0
	s_cbranch_execz .LBB3_81
; %bb.65:                               ;   in Loop: Header=BB3_11 Depth=1
	v_dual_mov_b32 v11, v21 :: v_dual_mov_b32 v32, v25
	v_dual_mov_b32 v33, v28 :: v_dual_mov_b32 v10, v13
	s_mul_i32 s10, s41, s13
	s_mov_b32 s12, 0
	s_mov_b32 s11, s10
	s_branch .LBB3_67
.LBB3_66:                               ;   in Loop: Header=BB3_67 Depth=2
	s_or_b32 exec_lo, exec_lo, s49
	v_dual_add_nc_u32 v10, 16, v10 :: v_dual_add_nc_u32 v33, 64, v33
	v_dual_add_nc_u32 v32, s46, v32 :: v_dual_add_nc_u32 v11, 64, v11
	s_delay_alu instid0(VALU_DEP_2) | instskip(SKIP_1) | instid1(SALU_CYCLE_1)
	v_cmp_le_i32_e32 vcc_lo, s13, v10
	s_or_b32 s12, vcc_lo, s12
	s_and_not1_b32 exec_lo, exec_lo, s12
	s_cbranch_execz .LBB3_81
.LBB3_67:                               ;   Parent Loop BB3_11 Depth=1
                                        ; =>  This Loop Header: Depth=2
                                        ;       Child Loop BB3_70 Depth 3
                                        ;       Child Loop BB3_77 Depth 3
	s_and_saveexec_b32 s49, s2
	s_cbranch_execz .LBB3_66
; %bb.68:                               ;   in Loop: Header=BB3_67 Depth=2
	v_dual_mov_b32 v1, v4 :: v_dual_mov_b32 v7, v27
	s_mov_b32 s51, -1
	s_and_saveexec_b32 s50, s6
	s_cbranch_execz .LBB3_74
; %bb.69:                               ;   in Loop: Header=BB3_67 Depth=2
	v_dual_mov_b32 v34, v18 :: v_dual_add_nc_u32 v1, s10, v10
	v_mov_b64_e32 v[14:15], v[4:5]
	s_mov_b32 s51, 0
	v_mov_b32_e32 v35, v33
	s_delay_alu instid0(VALU_DEP_3) | instskip(NEXT) | instid1(VALU_DEP_1)
	v_mul_lo_u32 v12, v1, s13
	v_dual_mov_b32 v1, v10 :: v_dual_mov_b32 v7, v12
.LBB3_70:                               ;   Parent Loop BB3_11 Depth=1
                                        ;     Parent Loop BB3_67 Depth=2
                                        ; =>    This Inner Loop Header: Depth=3
	s_delay_alu instid0(VALU_DEP_4)
	v_dual_add_nc_u32 v38, s11, v15 :: v_dual_add_nc_u32 v39, s10, v14
	ds_load_2addr_b32 v[36:37], v35 offset1:68
	v_dual_add_nc_u32 v34, -2, v34 :: v_dual_add_nc_u32 v40, v14, v12
	v_mad_u32 v38, v38, s44, v1
	v_mad_u32 v39, v39, s13, v10
	v_dual_add_nc_u32 v41, v15, v7 :: v_dual_add_nc_u32 v14, 8, v14
	s_delay_alu instid0(VALU_DEP_4)
	v_cmp_eq_u32_e32 vcc_lo, 0, v34
	v_add_nc_u32_e32 v15, 8, v15
	v_add_nc_u32_e32 v35, 0x220, v35
	s_or_b32 s51, vcc_lo, s51
	v_dual_cndmask_b32 v38, v38, v41, s3 :: v_dual_cndmask_b32 v39, v39, v40, s3
	s_wait_dscnt 0x0
	s_clause 0x1
	global_store_b32 v39, v36, s[20:21] scale_offset
	global_store_b32 v38, v37, s[20:21] scale_offset
	s_wait_xcnt 0x0
	s_and_not1_b32 exec_lo, exec_lo, s51
	s_cbranch_execnz .LBB3_70
; %bb.71:                               ;   in Loop: Header=BB3_67 Depth=2
	s_or_b32 exec_lo, exec_lo, s51
	s_mov_b32 s51, 0
                                        ; implicit-def: $vgpr7
	s_and_saveexec_b32 s52, s7
; %bb.72:                               ;   in Loop: Header=BB3_67 Depth=2
	v_mul_lo_u32 v7, 0x44, v22
	s_mov_b32 s51, exec_lo
; %bb.73:                               ;   in Loop: Header=BB3_67 Depth=2
	s_or_b32 exec_lo, exec_lo, s52
	v_mov_b32_e32 v1, v22
	s_or_not1_b32 s51, s51, exec_lo
.LBB3_74:                               ;   in Loop: Header=BB3_67 Depth=2
	s_or_b32 exec_lo, exec_lo, s50
	s_delay_alu instid0(SALU_CYCLE_1)
	s_and_b32 exec_lo, exec_lo, s51
	s_cbranch_execz .LBB3_66
; %bb.75:                               ;   in Loop: Header=BB3_67 Depth=2
	s_delay_alu instid0(VALU_DEP_1)
	v_add_nc_u32_e32 v7, v11, v7
	s_mov_b32 s50, 0
	s_branch .LBB3_77
.LBB3_76:                               ;   in Loop: Header=BB3_77 Depth=3
	v_add_nc_u32_e32 v1, 4, v1
	v_add_nc_u32_e32 v7, 0x110, v7
	s_wait_dscnt 0x0
	global_store_b32 v14, v12, s[20:21] scale_offset
	v_cmp_le_i32_e32 vcc_lo, s13, v1
	s_or_b32 s50, vcc_lo, s50
	s_wait_xcnt 0x0
	s_and_not1_b32 exec_lo, exec_lo, s50
	s_cbranch_execz .LBB3_66
.LBB3_77:                               ;   Parent Loop BB3_11 Depth=1
                                        ;     Parent Loop BB3_67 Depth=2
                                        ; =>    This Inner Loop Header: Depth=3
	ds_load_b32 v12, v7
	s_and_b32 vcc_lo, exec_lo, s42
	s_mov_b32 s51, -1
                                        ; implicit-def: $vgpr14
	s_cbranch_vccz .LBB3_79
; %bb.78:                               ;   in Loop: Header=BB3_77 Depth=3
	v_add_nc_u32_e32 v14, s10, v1
	s_mov_b32 s51, 0
	s_delay_alu instid0(VALU_DEP_1)
	v_mad_u32 v14, v14, s13, v10
.LBB3_79:                               ;   in Loop: Header=BB3_77 Depth=3
	s_and_not1_b32 vcc_lo, exec_lo, s51
	s_cbranch_vccnz .LBB3_76
; %bb.80:                               ;   in Loop: Header=BB3_77 Depth=3
	v_add_nc_u32_e32 v14, v32, v1
	s_branch .LBB3_76
.LBB3_81:                               ;   in Loop: Header=BB3_11 Depth=1
	s_or_b32 exec_lo, exec_lo, s9
	s_sub_co_i32 s9, s48, s14
	s_add_co_i32 s10, s47, 1
	s_delay_alu instid0(SALU_CYCLE_1)
	s_cmp_ge_i32 s10, s9
	s_cbranch_scc1 .LBB3_10
; %bb.82:                               ;   in Loop: Header=BB3_11 Depth=1
	v_mad_u32 v1, s13, s10, v13
	s_delay_alu instid0(VALU_DEP_1)
	v_mul_lo_u32 v11, s13, v1
	s_branch .LBB3_86
.LBB3_83:                               ;   in Loop: Header=BB3_86 Depth=2
	s_or_b32 exec_lo, exec_lo, s12
.LBB3_84:                               ;   in Loop: Header=BB3_86 Depth=2
	s_delay_alu instid0(SALU_CYCLE_1)
	s_or_b32 exec_lo, exec_lo, s11
.LBB3_85:                               ;   in Loop: Header=BB3_86 Depth=2
	v_add_nc_u32_e32 v11, s45, v11
	s_add_co_i32 s10, s10, 1
	s_wait_storecnt_dscnt 0x0
	s_cmp_lt_i32 s10, s9
	s_cbranch_scc0 .LBB3_10
.LBB3_86:                               ;   Parent Loop BB3_11 Depth=1
                                        ; =>  This Loop Header: Depth=2
                                        ;       Child Loop BB3_91 Depth 3
                                        ;       Child Loop BB3_100 Depth 3
                                        ;         Child Loop BB3_103 Depth 4
                                        ;         Child Loop BB3_110 Depth 4
                                        ;       Child Loop BB3_116 Depth 3
                                        ;         Child Loop BB3_119 Depth 4
                                        ;           Child Loop BB3_120 Depth 5
	v_dual_mov_b32 v1, s10 :: v_dual_mov_b32 v7, s37
	global_load_b32 v1, v1, s[18:19] scale_offset
	s_wait_xcnt 0x0
	s_and_saveexec_b32 s11, s5
	s_cbranch_execz .LBB3_88
; %bb.87:                               ;   in Loop: Header=BB3_86 Depth=2
	global_load_b32 v7, v[8:9], off
	s_wait_loadcnt 0x0
	v_subrev_nc_u32_e32 v7, s14, v7
.LBB3_88:                               ;   in Loop: Header=BB3_86 Depth=2
	s_wait_xcnt 0x0
	s_or_b32 exec_lo, exec_lo, s11
	s_wait_loadcnt 0x0
	v_subrev_nc_u32_e32 v1, s14, v1
	v_mov_b32_e32 v10, v6
	s_mov_b32 s11, exec_lo
	s_delay_alu instid0(VALU_DEP_2)
	v_cmpx_lt_i32_e64 v7, v1
	s_cbranch_execz .LBB3_94
; %bb.89:                               ;   in Loop: Header=BB3_86 Depth=2
	v_mov_b32_e32 v12, v6
	s_mov_b32 s12, 0
	s_branch .LBB3_91
.LBB3_90:                               ;   in Loop: Header=BB3_91 Depth=3
	s_wait_xcnt 0x0
	s_or_b32 exec_lo, exec_lo, s47
	s_delay_alu instid0(VALU_DEP_1) | instskip(SKIP_2) | instid1(SALU_CYCLE_1)
	v_cmp_ge_i32_e32 vcc_lo, v7, v1
	v_mov_b32_e32 v12, v10
	s_or_b32 s12, vcc_lo, s12
	s_and_not1_b32 exec_lo, exec_lo, s12
	s_cbranch_execz .LBB3_93
.LBB3_91:                               ;   Parent Loop BB3_11 Depth=1
                                        ;     Parent Loop BB3_86 Depth=2
                                        ; =>    This Inner Loop Header: Depth=3
	s_delay_alu instid0(VALU_DEP_1) | instskip(SKIP_1) | instid1(VALU_DEP_1)
	v_dual_mov_b32 v7, s37 :: v_dual_add_nc_u32 v10, 64, v12
	s_mov_b32 s47, exec_lo
	v_cmpx_gt_i32_e64 s15, v10
	s_cbranch_execz .LBB3_90
; %bb.92:                               ;   in Loop: Header=BB3_91 Depth=3
	global_load_b32 v7, v12, s[18:19] offset:256 scale_offset
	s_wait_loadcnt 0x0
	v_subrev_nc_u32_e32 v7, s14, v7
	s_branch .LBB3_90
.LBB3_93:                               ;   in Loop: Header=BB3_86 Depth=2
	s_or_b32 exec_lo, exec_lo, s12
.LBB3_94:                               ;   in Loop: Header=BB3_86 Depth=2
	s_delay_alu instid0(SALU_CYCLE_1)
	s_or_b32 exec_lo, exec_lo, s11
	v_cmp_eq_u32_e32 vcc_lo, v7, v1
	s_cbranch_vccz .LBB3_85
; %bb.95:                               ;   in Loop: Header=BB3_86 Depth=2
	s_ctz_i32_b32 s11, vcc_lo
	s_delay_alu instid0(SALU_CYCLE_1) | instskip(NEXT) | instid1(SALU_CYCLE_1)
	s_lshl_b32 s11, s11, 2
	v_mov_b32_e32 v1, s11
	ds_bpermute_b32 v32, v1, v10
	s_and_saveexec_b32 s11, s1
	s_delay_alu instid0(SALU_CYCLE_1)
	s_xor_b32 s11, exec_lo, s11
	s_cbranch_execz .LBB3_97
; %bb.96:                               ;   in Loop: Header=BB3_86 Depth=2
                                        ; implicit-def: $vgpr32
	s_wait_storecnt_dscnt 0x0
.LBB3_97:                               ;   in Loop: Header=BB3_86 Depth=2
	s_and_not1_saveexec_b32 s11, s11
	s_cbranch_execz .LBB3_84
; %bb.98:                               ;   in Loop: Header=BB3_86 Depth=2
	v_dual_mov_b32 v33, v17 :: v_dual_mov_b32 v34, v11
	v_dual_mov_b32 v35, v23 :: v_dual_mov_b32 v10, v13
	s_mul_i32 s12, s10, s13
	s_mov_b32 s47, 0
	s_mov_b32 s48, s12
	s_branch .LBB3_100
.LBB3_99:                               ;   in Loop: Header=BB3_100 Depth=3
	s_or_b32 exec_lo, exec_lo, s49
	v_dual_add_nc_u32 v10, 16, v10 :: v_dual_add_nc_u32 v35, 64, v35
	v_dual_add_nc_u32 v34, s46, v34 :: v_dual_add_nc_u32 v33, 64, v33
	s_delay_alu instid0(VALU_DEP_2) | instskip(SKIP_1) | instid1(SALU_CYCLE_1)
	v_cmp_le_i32_e32 vcc_lo, s13, v10
	s_or_b32 s47, vcc_lo, s47
	s_and_not1_b32 exec_lo, exec_lo, s47
	s_cbranch_execz .LBB3_114
.LBB3_100:                              ;   Parent Loop BB3_11 Depth=1
                                        ;     Parent Loop BB3_86 Depth=2
                                        ; =>    This Loop Header: Depth=3
                                        ;         Child Loop BB3_103 Depth 4
                                        ;         Child Loop BB3_110 Depth 4
	s_and_saveexec_b32 s49, s2
	s_cbranch_execz .LBB3_99
; %bb.101:                              ;   in Loop: Header=BB3_100 Depth=3
	v_dual_mov_b32 v1, v4 :: v_dual_mov_b32 v7, v27
	s_mov_b32 s51, -1
	s_and_saveexec_b32 s50, s6
	s_cbranch_execz .LBB3_107
; %bb.102:                              ;   in Loop: Header=BB3_100 Depth=3
	v_dual_mov_b32 v36, v18 :: v_dual_add_nc_u32 v1, s12, v10
	v_mov_b64_e32 v[14:15], v[4:5]
	s_mov_b32 s51, 0
	v_mov_b32_e32 v37, v35
	s_delay_alu instid0(VALU_DEP_3) | instskip(NEXT) | instid1(VALU_DEP_1)
	v_mul_lo_u32 v12, v1, s13
	v_dual_mov_b32 v1, v10 :: v_dual_mov_b32 v7, v12
.LBB3_103:                              ;   Parent Loop BB3_11 Depth=1
                                        ;     Parent Loop BB3_86 Depth=2
                                        ;       Parent Loop BB3_100 Depth=3
                                        ; =>      This Inner Loop Header: Depth=4
	s_delay_alu instid0(VALU_DEP_4) | instskip(NEXT) | instid1(VALU_DEP_2)
	v_dual_add_nc_u32 v38, s12, v14 :: v_dual_add_nc_u32 v39, s48, v15
	v_dual_add_nc_u32 v40, v14, v12 :: v_dual_add_nc_u32 v41, v15, v7
	v_dual_add_nc_u32 v36, -2, v36 :: v_dual_add_nc_u32 v15, 8, v15
	s_delay_alu instid0(VALU_DEP_3) | instskip(NEXT) | instid1(VALU_DEP_4)
	v_mad_u32 v38, v38, s13, v10
	v_mad_u32 v39, v39, s44, v1
	v_add_nc_u32_e32 v14, 8, v14
	s_delay_alu instid0(VALU_DEP_4) | instskip(SKIP_1) | instid1(VALU_DEP_3)
	v_cmp_eq_u32_e32 vcc_lo, 0, v36
	s_or_b32 s51, vcc_lo, s51
	v_dual_cndmask_b32 v38, v38, v40, s3 :: v_dual_cndmask_b32 v39, v39, v41, s3
	s_clause 0x1
	global_load_b32 v40, v38, s[20:21] scale_offset
	global_load_b32 v41, v39, s[20:21] scale_offset
	s_wait_loadcnt 0x0
	ds_store_2addr_b32 v37, v40, v41 offset1:68
	v_add_nc_u32_e32 v37, 0x220, v37
	s_wait_xcnt 0x0
	s_and_not1_b32 exec_lo, exec_lo, s51
	s_cbranch_execnz .LBB3_103
; %bb.104:                              ;   in Loop: Header=BB3_100 Depth=3
	s_or_b32 exec_lo, exec_lo, s51
	s_mov_b32 s51, 0
                                        ; implicit-def: $vgpr7
	s_and_saveexec_b32 s52, s7
; %bb.105:                              ;   in Loop: Header=BB3_100 Depth=3
	v_mul_lo_u32 v7, 0x44, v22
	s_mov_b32 s51, exec_lo
; %bb.106:                              ;   in Loop: Header=BB3_100 Depth=3
	s_or_b32 exec_lo, exec_lo, s52
	v_mov_b32_e32 v1, v22
	s_or_not1_b32 s51, s51, exec_lo
.LBB3_107:                              ;   in Loop: Header=BB3_100 Depth=3
	s_or_b32 exec_lo, exec_lo, s50
	s_delay_alu instid0(SALU_CYCLE_1)
	s_and_b32 exec_lo, exec_lo, s51
	s_cbranch_execz .LBB3_99
; %bb.108:                              ;   in Loop: Header=BB3_100 Depth=3
	s_delay_alu instid0(VALU_DEP_1)
	v_add_nc_u32_e32 v7, v33, v7
	s_mov_b32 s50, 0
	s_branch .LBB3_110
.LBB3_109:                              ;   in Loop: Header=BB3_110 Depth=4
	global_load_b32 v12, v12, s[20:21] scale_offset
	v_add_nc_u32_e32 v1, 4, v1
	s_delay_alu instid0(VALU_DEP_1)
	v_cmp_le_i32_e32 vcc_lo, s13, v1
	s_or_b32 s50, vcc_lo, s50
	s_wait_loadcnt 0x0
	ds_store_b32 v7, v12
	v_add_nc_u32_e32 v7, 0x110, v7
	s_wait_xcnt 0x0
	s_and_not1_b32 exec_lo, exec_lo, s50
	s_cbranch_execz .LBB3_99
.LBB3_110:                              ;   Parent Loop BB3_11 Depth=1
                                        ;     Parent Loop BB3_86 Depth=2
                                        ;       Parent Loop BB3_100 Depth=3
                                        ; =>      This Inner Loop Header: Depth=4
	s_and_b32 vcc_lo, exec_lo, s42
	s_mov_b32 s51, -1
                                        ; implicit-def: $vgpr12
	s_cbranch_vccz .LBB3_112
; %bb.111:                              ;   in Loop: Header=BB3_110 Depth=4
	v_add_nc_u32_e32 v12, s12, v1
	s_mov_b32 s51, 0
	s_delay_alu instid0(VALU_DEP_1)
	v_mad_u32 v12, v12, s13, v10
.LBB3_112:                              ;   in Loop: Header=BB3_110 Depth=4
	s_and_not1_b32 vcc_lo, exec_lo, s51
	s_cbranch_vccnz .LBB3_109
; %bb.113:                              ;   in Loop: Header=BB3_110 Depth=4
	v_add_nc_u32_e32 v12, v34, v1
	s_branch .LBB3_109
.LBB3_114:                              ;   in Loop: Header=BB3_86 Depth=2
	s_or_b32 exec_lo, exec_lo, s47
	s_wait_dscnt 0x0
	v_mul_lo_u32 v1, v32, s13
	v_dual_mov_b32 v7, v21 :: v_dual_mov_b32 v10, v13
	s_mov_b32 s12, 0
	s_wait_storecnt 0x0
	s_branch .LBB3_116
.LBB3_115:                              ;   in Loop: Header=BB3_116 Depth=3
	s_or_b32 exec_lo, exec_lo, s47
	v_dual_add_nc_u32 v10, 16, v10 :: v_dual_add_nc_u32 v7, 64, v7
	s_delay_alu instid0(VALU_DEP_1) | instskip(SKIP_1) | instid1(SALU_CYCLE_1)
	v_cmp_le_i32_e32 vcc_lo, s13, v10
	s_or_b32 s12, vcc_lo, s12
	s_and_not1_b32 exec_lo, exec_lo, s12
	s_cbranch_execz .LBB3_83
.LBB3_116:                              ;   Parent Loop BB3_11 Depth=1
                                        ;     Parent Loop BB3_86 Depth=2
                                        ; =>    This Loop Header: Depth=3
                                        ;         Child Loop BB3_119 Depth 4
                                        ;           Child Loop BB3_120 Depth 5
	s_and_saveexec_b32 s47, s2
	s_cbranch_execz .LBB3_115
; %bb.117:                              ;   in Loop: Header=BB3_116 Depth=3
	s_delay_alu instid0(VALU_DEP_2) | instskip(SKIP_2) | instid1(VALU_DEP_2)
	v_dual_add_nc_u32 v12, v10, v1 :: v_dual_mov_b32 v14, v27
	v_mov_b32_e32 v15, v4
	s_mov_b32 s48, 0
	v_mul_lo_u32 v12, v12, s13
	s_branch .LBB3_119
.LBB3_118:                              ;   in Loop: Header=BB3_119 Depth=4
	global_load_b32 v34, v33, s[20:21] scale_offset
	v_add_nc_u32_e32 v15, 4, v15
	v_add_nc_u32_e32 v14, 0x110, v14
	s_wait_loadcnt 0x0
	v_sub_f32_e32 v32, v34, v32
	s_delay_alu instid0(VALU_DEP_3)
	v_cmp_le_i32_e32 vcc_lo, s13, v15
	global_store_b32 v33, v32, s[20:21] scale_offset
	s_or_b32 s48, vcc_lo, s48
	s_wait_xcnt 0x0
	s_and_not1_b32 exec_lo, exec_lo, s48
	s_cbranch_execz .LBB3_115
.LBB3_119:                              ;   Parent Loop BB3_11 Depth=1
                                        ;     Parent Loop BB3_86 Depth=2
                                        ;       Parent Loop BB3_116 Depth=3
                                        ; =>      This Loop Header: Depth=4
                                        ;           Child Loop BB3_120 Depth 5
	v_dual_mov_b32 v32, 0 :: v_dual_mov_b32 v33, v7
	v_mov_b32_e32 v34, v14
	s_mov_b32 s49, s13
.LBB3_120:                              ;   Parent Loop BB3_11 Depth=1
                                        ;     Parent Loop BB3_86 Depth=2
                                        ;       Parent Loop BB3_116 Depth=3
                                        ;         Parent Loop BB3_119 Depth=4
                                        ; =>        This Inner Loop Header: Depth=5
	ds_load_b32 v35, v33
	ds_load_b32 v36, v34
	v_add_nc_u32_e32 v34, 4, v34
	v_add_nc_u32_e32 v33, 0x44, v33
	s_add_co_i32 s49, s49, -1
	s_delay_alu instid0(SALU_CYCLE_1)
	s_cmp_eq_u32 s49, 0
	s_wait_dscnt 0x0
	v_fmac_f32_e32 v32, v35, v36
	s_cbranch_scc0 .LBB3_120
; %bb.121:                              ;   in Loop: Header=BB3_119 Depth=4
	s_and_b32 vcc_lo, exec_lo, s42
	s_mov_b32 s49, -1
                                        ; implicit-def: $vgpr33
	s_cbranch_vccz .LBB3_123
; %bb.122:                              ;   in Loop: Header=BB3_119 Depth=4
	v_add_nc_u32_e32 v33, v15, v1
	s_mov_b32 s49, 0
	s_delay_alu instid0(VALU_DEP_1)
	v_mad_u32 v33, v33, s13, v10
.LBB3_123:                              ;   in Loop: Header=BB3_119 Depth=4
	s_and_not1_b32 vcc_lo, exec_lo, s49
	s_cbranch_vccnz .LBB3_118
; %bb.124:                              ;   in Loop: Header=BB3_119 Depth=4
	v_add_nc_u32_e32 v33, v15, v12
	s_branch .LBB3_118
.LBB3_125:
	s_wait_xcnt 0x0
	v_mov_b32_e32 v1, s35
	global_load_b32 v1, v1, s[18:19] scale_offset
	s_wait_loadcnt 0x0
	s_wait_xcnt 0x0
	v_subrev_nc_u32_e32 v1, s14, v1
	s_delay_alu instid0(VALU_DEP_1)
	v_cmp_ne_u32_e32 vcc_lo, s34, v1
	s_cbranch_vccnz .LBB3_184
; %bb.126:
	v_and_b32_e32 v4, 0x3ff, v0
	s_delay_alu instid0(VALU_DEP_1)
	v_cmp_gt_i32_e64 s0, s13, v4
	v_lshlrev_b32_e32 v11, 2, v4
	s_and_saveexec_b32 s5, s0
	s_cbranch_execz .LBB3_144
; %bb.127:
	v_bfe_u32 v6, v0, 10, 10
	s_mul_i32 s7, s35, s13
	s_cmp_lg_u32 s36, 0
	s_mov_b32 s8, 0
	s_cselect_b32 s6, -1, 0
	v_xad_u32 v1, v6, -1, s13
	v_cmp_gt_u32_e64 s1, s13, v6
	v_mul_u32_u24_e32 v18, 0x44, v6
	s_cmp_eq_u32 s36, 0
	s_mov_b32 s9, s7
	v_dual_lshrrev_b32 v5, 2, v1 :: v_dual_add_nc_u32 v7, s7, v4
	v_cmp_lt_u32_e64 s3, 3, v1
	s_cselect_b32 s2, -1, 0
	s_mov_b32 s10, s13
	v_dual_add_nc_u32 v5, 1, v5 :: v_dual_lshlrev_b32 v15, 2, v4
	v_mul_lo_u32 v16, s13, v7
	v_dual_mov_b32 v8, v4 :: v_dual_add_nc_u32 v7, 4, v6
	s_delay_alu instid0(VALU_DEP_3) | instskip(NEXT) | instid1(VALU_DEP_4)
	v_and_b32_e32 v9, 0x7ffffffe, v5
	v_mad_u32_u24 v19, 0x44, v6, v15
	s_lshl_b32 s11, s13, 4
	s_delay_alu instid0(VALU_DEP_2) | instskip(SKIP_1) | instid1(VALU_DEP_2)
	v_lshl_add_u32 v14, v9, 2, v6
	v_cmp_ne_u32_e64 s4, v5, v9
	v_mul_lo_u32 v17, 0x44, v14
	s_branch .LBB3_129
.LBB3_128:                              ;   in Loop: Header=BB3_129 Depth=1
	s_or_b32 exec_lo, exec_lo, s12
	v_dual_add_nc_u32 v8, 16, v8 :: v_dual_add_nc_u32 v19, 64, v19
	v_dual_add_nc_u32 v16, s11, v16 :: v_dual_add_nc_u32 v15, 64, v15
	s_delay_alu instid0(VALU_DEP_2) | instskip(SKIP_1) | instid1(SALU_CYCLE_1)
	v_cmp_le_i32_e32 vcc_lo, s13, v8
	s_or_b32 s8, vcc_lo, s8
	s_and_not1_b32 exec_lo, exec_lo, s8
	s_cbranch_execz .LBB3_144
.LBB3_129:                              ; =>This Loop Header: Depth=1
                                        ;     Child Loop BB3_132 Depth 2
                                        ;     Child Loop BB3_139 Depth 2
	s_and_saveexec_b32 s12, s1
	s_cbranch_execz .LBB3_128
; %bb.130:                              ;   in Loop: Header=BB3_129 Depth=1
	v_dual_mov_b32 v1, v6 :: v_dual_mov_b32 v5, v18
	s_mov_b32 s17, -1
	s_and_saveexec_b32 s16, s3
	s_cbranch_execz .LBB3_136
; %bb.131:                              ;   in Loop: Header=BB3_129 Depth=1
	v_dual_mov_b32 v20, v9 :: v_dual_add_nc_u32 v1, s7, v8
	v_mov_b64_e32 v[12:13], v[6:7]
	s_mov_b32 s17, 0
	v_mov_b32_e32 v21, v19
	s_delay_alu instid0(VALU_DEP_3) | instskip(NEXT) | instid1(VALU_DEP_1)
	v_mul_lo_u32 v10, v1, s13
	v_dual_mov_b32 v1, v8 :: v_dual_mov_b32 v5, v10
.LBB3_132:                              ;   Parent Loop BB3_129 Depth=1
                                        ; =>  This Inner Loop Header: Depth=2
	s_delay_alu instid0(VALU_DEP_4) | instskip(NEXT) | instid1(VALU_DEP_2)
	v_dual_add_nc_u32 v22, s7, v12 :: v_dual_add_nc_u32 v23, s9, v13
	v_dual_add_nc_u32 v24, v12, v10 :: v_dual_add_nc_u32 v25, v13, v5
	v_dual_add_nc_u32 v20, -2, v20 :: v_dual_add_nc_u32 v13, 8, v13
	s_delay_alu instid0(VALU_DEP_3) | instskip(NEXT) | instid1(VALU_DEP_4)
	v_mad_u32 v22, v22, s13, v8
	v_mad_u32 v23, v23, s10, v1
	v_add_nc_u32_e32 v12, 8, v12
	s_delay_alu instid0(VALU_DEP_4) | instskip(SKIP_1) | instid1(VALU_DEP_3)
	v_cmp_eq_u32_e32 vcc_lo, 0, v20
	s_or_b32 s17, vcc_lo, s17
	v_dual_cndmask_b32 v22, v22, v24, s2 :: v_dual_cndmask_b32 v23, v23, v25, s2
	s_clause 0x1
	global_load_b32 v24, v22, s[20:21] scale_offset
	global_load_b32 v25, v23, s[20:21] scale_offset
	s_wait_loadcnt 0x0
	ds_store_2addr_b32 v21, v24, v25 offset1:68
	v_add_nc_u32_e32 v21, 0x220, v21
	s_wait_xcnt 0x0
	s_and_not1_b32 exec_lo, exec_lo, s17
	s_cbranch_execnz .LBB3_132
; %bb.133:                              ;   in Loop: Header=BB3_129 Depth=1
	s_or_b32 exec_lo, exec_lo, s17
	s_mov_b32 s17, 0
	s_and_saveexec_b32 s18, s4
; %bb.134:                              ;   in Loop: Header=BB3_129 Depth=1
	s_mov_b32 s17, exec_lo
; %bb.135:                              ;   in Loop: Header=BB3_129 Depth=1
	s_or_b32 exec_lo, exec_lo, s18
	v_dual_mov_b32 v1, v14 :: v_dual_mov_b32 v5, v17
	s_or_not1_b32 s17, s17, exec_lo
.LBB3_136:                              ;   in Loop: Header=BB3_129 Depth=1
	s_or_b32 exec_lo, exec_lo, s16
	s_delay_alu instid0(SALU_CYCLE_1)
	s_and_b32 exec_lo, exec_lo, s17
	s_cbranch_execz .LBB3_128
; %bb.137:                              ;   in Loop: Header=BB3_129 Depth=1
	v_add_nc_u32_e32 v5, v15, v5
	s_mov_b32 s16, 0
	s_branch .LBB3_139
.LBB3_138:                              ;   in Loop: Header=BB3_139 Depth=2
	global_load_b32 v10, v10, s[20:21] scale_offset
	v_add_nc_u32_e32 v1, 4, v1
	s_delay_alu instid0(VALU_DEP_1)
	v_cmp_le_i32_e32 vcc_lo, s13, v1
	s_or_b32 s16, vcc_lo, s16
	s_wait_loadcnt 0x0
	ds_store_b32 v5, v10
	v_add_nc_u32_e32 v5, 0x110, v5
	s_wait_xcnt 0x0
	s_and_not1_b32 exec_lo, exec_lo, s16
	s_cbranch_execz .LBB3_128
.LBB3_139:                              ;   Parent Loop BB3_129 Depth=1
                                        ; =>  This Inner Loop Header: Depth=2
	s_and_b32 vcc_lo, exec_lo, s6
	s_mov_b32 s17, -1
                                        ; implicit-def: $vgpr10
	s_cbranch_vccz .LBB3_141
; %bb.140:                              ;   in Loop: Header=BB3_139 Depth=2
	v_add_nc_u32_e32 v10, s7, v1
	s_mov_b32 s17, 0
	s_delay_alu instid0(VALU_DEP_1)
	v_mad_u32 v10, v10, s13, v8
.LBB3_141:                              ;   in Loop: Header=BB3_139 Depth=2
	s_and_not1_b32 vcc_lo, exec_lo, s17
	s_cbranch_vccnz .LBB3_138
; %bb.142:                              ;   in Loop: Header=BB3_139 Depth=2
	v_add_nc_u32_e32 v10, v16, v1
	s_branch .LBB3_138
.LBB3_143:
	s_mov_b32 s33, -1
	s_branch .LBB3_250
.LBB3_144:
	s_or_b32 exec_lo, exec_lo, s5
	s_cmp_lt_i32 s13, 1
	s_wait_storecnt_dscnt 0x0
	s_cbranch_scc1 .LBB3_166
; %bb.145:
	v_cvt_f64_f32_e32 v[8:9], s40
	v_bfe_u32 v1, v0, 10, 10
	v_lshlrev_b32_e32 v6, 2, v4
	s_cmp_eq_u64 s[24:25], 8
	s_mov_b32 s4, 0
	s_cselect_b32 vcc_lo, -1, 0
	v_or_b32_e32 v7, v4, v1
	v_mul_u32_u24_e32 v10, 0x44, v1
	v_cmp_eq_u32_e64 s1, 0, v1
	v_mad_u32_u24 v5, 0x44, v1, 0x44
	s_delay_alu instid0(VALU_DEP_4) | instskip(NEXT) | instid1(VALU_DEP_4)
	v_cmp_eq_u32_e64 s2, 0, v7
	v_add3_u32 v6, v10, v6, 0x48
	v_dual_cndmask_b32 v3, v9, v3 :: v_dual_cndmask_b32 v2, v8, v2
.LBB3_146:                              ; =>This Loop Header: Depth=1
                                        ;     Child Loop BB3_158 Depth 2
                                        ;       Child Loop BB3_162 Depth 3
	s_mul_i32 s5, s4, 0x44
	s_lshl_b32 s3, s4, 2
	s_mov_b32 s8, -1
	s_add_co_i32 s7, s5, s3
	s_and_not1_b32 vcc_lo, exec_lo, s38
	v_mov_b32_e32 v7, s7
	s_mov_b32 s6, 0
	ds_load_b32 v7, v7
	s_wait_dscnt 0x0
	v_readfirstlane_b32 s3, v7
                                        ; implicit-def: $vgpr7
	s_cbranch_vccz .LBB3_151
; %bb.147:                              ;   in Loop: Header=BB3_146 Depth=1
	s_and_not1_b32 vcc_lo, exec_lo, s8
	s_mov_b32 s7, 0
	s_cbranch_vccz .LBB3_154
.LBB3_148:                              ;   in Loop: Header=BB3_146 Depth=1
	s_and_not1_b32 vcc_lo, exec_lo, s6
                                        ; implicit-def: $sgpr6
	s_cbranch_vccz .LBB3_155
.LBB3_149:                              ;   in Loop: Header=BB3_146 Depth=1
	s_and_not1_b32 vcc_lo, exec_lo, s7
	s_cbranch_vccz .LBB3_164
.LBB3_150:                              ;   in Loop: Header=BB3_146 Depth=1
	v_add_nc_u32_e32 v6, 0x48, v6
	v_add_nc_u32_e32 v5, 0x48, v5
	s_cmp_eq_u32 s6, s13
	s_cbranch_scc0 .LBB3_165
	s_branch .LBB3_166
.LBB3_151:                              ;   in Loop: Header=BB3_146 Depth=1
	s_xor_b32 s6, s3, 0x80000000
	s_cmp_lt_f32 s3, 0
	v_mov_b32_e32 v7, s39
	s_cselect_b32 s6, s6, s3
	s_delay_alu instid0(SALU_CYCLE_1) | instskip(NEXT) | instid1(VALU_DEP_1)
	v_cvt_f64_f32_e32 v[8:9], s6
	v_cmp_ge_f64_e32 vcc_lo, v[2:3], v[8:9]
	s_delay_alu instid0(VALU_DEP_3)
	v_cndmask_b32_e32 v7, s3, v7, vcc_lo
	s_and_saveexec_b32 s6, s2
; %bb.152:                              ;   in Loop: Header=BB3_146 Depth=1
	v_mov_b32_e32 v8, s7
	ds_store_b32 v8, v7
; %bb.153:                              ;   in Loop: Header=BB3_146 Depth=1
	s_or_b32 exec_lo, exec_lo, s6
	s_mov_b32 s6, -1
	s_mov_b32 s7, 0
	s_cbranch_execnz .LBB3_148
.LBB3_154:                              ;   in Loop: Header=BB3_146 Depth=1
	s_cmp_neq_f32 s3, 0
	v_mov_b32_e32 v7, s3
	s_mov_b32 s7, -1
	s_cselect_b32 s6, -1, 0
	s_delay_alu instid0(SALU_CYCLE_1)
	s_and_not1_b32 vcc_lo, exec_lo, s6
                                        ; implicit-def: $sgpr6
	s_cbranch_vccnz .LBB3_149
.LBB3_155:                              ;   in Loop: Header=BB3_146 Depth=1
	s_add_co_i32 s6, s4, 1
	s_mov_b32 s7, exec_lo
	v_add_nc_u32_e32 v8, s6, v4
	s_delay_alu instid0(VALU_DEP_1)
	v_cmpx_gt_i32_e64 s13, v8
	s_cbranch_execz .LBB3_163
; %bb.156:                              ;   in Loop: Header=BB3_146 Depth=1
	v_dual_mov_b32 v10, v6 :: v_dual_add_nc_u32 v9, s6, v1
	s_mov_b32 s8, 0
	s_delay_alu instid0(VALU_DEP_1)
	v_cmp_gt_i32_e64 s3, s13, v9
	s_branch .LBB3_158
.LBB3_157:                              ;   in Loop: Header=BB3_158 Depth=2
	s_or_b32 exec_lo, exec_lo, s9
	v_dual_add_nc_u32 v8, 16, v8 :: v_dual_add_nc_u32 v10, 64, v10
	s_delay_alu instid0(VALU_DEP_1) | instskip(SKIP_1) | instid1(SALU_CYCLE_1)
	v_cmp_le_i32_e32 vcc_lo, s13, v8
	s_or_b32 s8, vcc_lo, s8
	s_and_not1_b32 exec_lo, exec_lo, s8
	s_cbranch_execz .LBB3_163
.LBB3_158:                              ;   Parent Loop BB3_146 Depth=1
                                        ; =>  This Loop Header: Depth=2
                                        ;       Child Loop BB3_162 Depth 3
	v_lshl_add_u32 v13, v8, 2, s5
	ds_load_b32 v12, v13
	s_wait_dscnt 0x0
	v_div_scale_f32 v14, null, v7, v7, v12
	s_delay_alu instid0(VALU_DEP_1) | instskip(SKIP_1) | instid1(TRANS32_DEP_1)
	v_rcp_f32_e32 v15, v14
	v_nop
	v_fma_f32 v16, -v14, v15, 1.0
	s_delay_alu instid0(VALU_DEP_1) | instskip(SKIP_1) | instid1(VALU_DEP_1)
	v_fmac_f32_e32 v15, v16, v15
	v_div_scale_f32 v16, vcc_lo, v12, v7, v12
	v_mul_f32_e32 v17, v16, v15
	s_delay_alu instid0(VALU_DEP_1) | instskip(NEXT) | instid1(VALU_DEP_1)
	v_fma_f32 v18, -v14, v17, v16
	v_fmac_f32_e32 v17, v18, v15
	s_delay_alu instid0(VALU_DEP_1) | instskip(NEXT) | instid1(VALU_DEP_1)
	v_fma_f32 v14, -v14, v17, v16
	v_div_fmas_f32 v14, v14, v15, v17
	s_delay_alu instid0(VALU_DEP_1)
	v_div_fixup_f32 v12, v14, v7, v12
	s_and_saveexec_b32 s9, s1
; %bb.159:                              ;   in Loop: Header=BB3_158 Depth=2
	ds_store_b32 v13, v12
; %bb.160:                              ;   in Loop: Header=BB3_158 Depth=2
	s_or_b32 exec_lo, exec_lo, s9
	s_and_saveexec_b32 s9, s3
	s_cbranch_execz .LBB3_157
; %bb.161:                              ;   in Loop: Header=BB3_158 Depth=2
	v_dual_mov_b32 v13, v5 :: v_dual_mov_b32 v14, v10
	v_mov_b32_e32 v15, v9
	s_mov_b32 s10, 0
.LBB3_162:                              ;   Parent Loop BB3_146 Depth=1
                                        ;     Parent Loop BB3_158 Depth=2
                                        ; =>    This Inner Loop Header: Depth=3
	ds_load_b32 v16, v13
	ds_load_b32 v17, v14
	v_add_nc_u32_e32 v15, 4, v15
	v_add_nc_u32_e32 v13, 0x110, v13
	s_wait_dscnt 0x0
	v_fma_f32 v16, -v12, v16, v17
	s_delay_alu instid0(VALU_DEP_3) | instskip(SKIP_3) | instid1(SALU_CYCLE_1)
	v_cmp_le_i32_e32 vcc_lo, s13, v15
	ds_store_b32 v14, v16
	v_add_nc_u32_e32 v14, 0x110, v14
	s_or_b32 s10, vcc_lo, s10
	s_and_not1_b32 exec_lo, exec_lo, s10
	s_cbranch_execnz .LBB3_162
	s_branch .LBB3_157
.LBB3_163:                              ;   in Loop: Header=BB3_146 Depth=1
	s_or_b32 exec_lo, exec_lo, s7
	s_cbranch_execnz .LBB3_150
.LBB3_164:                              ;   in Loop: Header=BB3_146 Depth=1
	s_add_co_i32 s6, s4, 1
	s_mov_b32 s33, -1
	v_add_nc_u32_e32 v6, 0x48, v6
	v_add_nc_u32_e32 v5, 0x48, v5
	s_cmp_eq_u32 s6, s13
	s_cbranch_scc1 .LBB3_166
.LBB3_165:                              ;   in Loop: Header=BB3_146 Depth=1
	s_mov_b32 s4, s6
	s_branch .LBB3_146
.LBB3_166:
	s_wait_dscnt 0x0
	s_and_saveexec_b32 s4, s0
	s_cbranch_execz .LBB3_183
; %bb.167:
	v_bfe_u32 v2, v0, 10, 10
	s_mul_i32 s5, s35, s13
	s_cmp_lg_u32 s36, 0
	s_mov_b32 s6, 0
	s_cselect_b32 s7, -1, 0
	v_xad_u32 v1, v2, -1, s13
	v_cmp_gt_u32_e64 s0, s13, v2
	v_mul_u32_u24_e32 v14, 0x44, v2
	v_mad_u32_u24 v15, 0x44, v2, v11
	s_cmp_eq_u32 s36, 0
	v_lshrrev_b32_e32 v3, 2, v1
	v_cmp_lt_u32_e64 s2, 3, v1
	s_cselect_b32 s1, -1, 0
	s_mov_b32 s8, s5
	s_mov_b32 s9, s13
	v_dual_add_nc_u32 v5, 1, v3 :: v_dual_add_nc_u32 v3, s5, v4
	s_lshl_b32 s10, s13, 4
	s_delay_alu instid0(VALU_DEP_1) | instskip(NEXT) | instid1(VALU_DEP_2)
	v_and_b32_e32 v7, 0x7ffffffe, v5
	v_mul_lo_u32 v12, s13, v3
	v_add_nc_u32_e32 v3, 4, v2
	s_delay_alu instid0(VALU_DEP_3) | instskip(SKIP_1) | instid1(VALU_DEP_2)
	v_lshl_add_u32 v10, v7, 2, v2
	v_cmp_ne_u32_e64 s3, v5, v7
	v_mul_lo_u32 v13, 0x44, v10
	s_branch .LBB3_169
.LBB3_168:                              ;   in Loop: Header=BB3_169 Depth=1
	s_or_b32 exec_lo, exec_lo, s11
	v_dual_add_nc_u32 v4, 16, v4 :: v_dual_add_nc_u32 v15, 64, v15
	v_dual_add_nc_u32 v12, s10, v12 :: v_dual_add_nc_u32 v11, 64, v11
	s_delay_alu instid0(VALU_DEP_2) | instskip(SKIP_1) | instid1(SALU_CYCLE_1)
	v_cmp_le_i32_e32 vcc_lo, s13, v4
	s_or_b32 s6, vcc_lo, s6
	s_and_not1_b32 exec_lo, exec_lo, s6
	s_cbranch_execz .LBB3_183
.LBB3_169:                              ; =>This Loop Header: Depth=1
                                        ;     Child Loop BB3_172 Depth 2
                                        ;     Child Loop BB3_179 Depth 2
	s_and_saveexec_b32 s11, s0
	s_cbranch_execz .LBB3_168
; %bb.170:                              ;   in Loop: Header=BB3_169 Depth=1
	v_dual_mov_b32 v1, v2 :: v_dual_mov_b32 v5, v14
	s_mov_b32 s16, -1
	s_and_saveexec_b32 s12, s2
	s_cbranch_execz .LBB3_176
; %bb.171:                              ;   in Loop: Header=BB3_169 Depth=1
	v_dual_mov_b32 v16, v7 :: v_dual_add_nc_u32 v1, s5, v4
	v_mov_b64_e32 v[8:9], v[2:3]
	s_mov_b32 s16, 0
	v_mov_b32_e32 v17, v15
	s_delay_alu instid0(VALU_DEP_3) | instskip(NEXT) | instid1(VALU_DEP_1)
	v_mul_lo_u32 v6, v1, s13
	v_dual_mov_b32 v1, v4 :: v_dual_mov_b32 v5, v6
.LBB3_172:                              ;   Parent Loop BB3_169 Depth=1
                                        ; =>  This Inner Loop Header: Depth=2
	s_delay_alu instid0(VALU_DEP_4)
	v_dual_add_nc_u32 v20, s8, v9 :: v_dual_add_nc_u32 v21, s5, v8
	ds_load_2addr_b32 v[18:19], v17 offset1:68
	v_dual_add_nc_u32 v16, -2, v16 :: v_dual_add_nc_u32 v22, v8, v6
	v_mad_u32 v20, v20, s9, v1
	v_mad_u32 v21, v21, s13, v4
	v_dual_add_nc_u32 v23, v9, v5 :: v_dual_add_nc_u32 v8, 8, v8
	s_delay_alu instid0(VALU_DEP_4)
	v_cmp_eq_u32_e32 vcc_lo, 0, v16
	v_add_nc_u32_e32 v9, 8, v9
	v_add_nc_u32_e32 v17, 0x220, v17
	s_or_b32 s16, vcc_lo, s16
	v_dual_cndmask_b32 v20, v20, v23, s1 :: v_dual_cndmask_b32 v21, v21, v22, s1
	s_wait_dscnt 0x0
	s_clause 0x1
	global_store_b32 v21, v18, s[20:21] scale_offset
	global_store_b32 v20, v19, s[20:21] scale_offset
	s_wait_xcnt 0x0
	s_and_not1_b32 exec_lo, exec_lo, s16
	s_cbranch_execnz .LBB3_172
; %bb.173:                              ;   in Loop: Header=BB3_169 Depth=1
	s_or_b32 exec_lo, exec_lo, s16
	s_mov_b32 s16, 0
	s_and_saveexec_b32 s17, s3
; %bb.174:                              ;   in Loop: Header=BB3_169 Depth=1
	s_mov_b32 s16, exec_lo
; %bb.175:                              ;   in Loop: Header=BB3_169 Depth=1
	s_or_b32 exec_lo, exec_lo, s17
	v_dual_mov_b32 v1, v10 :: v_dual_mov_b32 v5, v13
	s_or_not1_b32 s16, s16, exec_lo
.LBB3_176:                              ;   in Loop: Header=BB3_169 Depth=1
	s_or_b32 exec_lo, exec_lo, s12
	s_delay_alu instid0(SALU_CYCLE_1)
	s_and_b32 exec_lo, exec_lo, s16
	s_cbranch_execz .LBB3_168
; %bb.177:                              ;   in Loop: Header=BB3_169 Depth=1
	v_add_nc_u32_e32 v5, v11, v5
	s_mov_b32 s12, 0
	s_branch .LBB3_179
.LBB3_178:                              ;   in Loop: Header=BB3_179 Depth=2
	v_add_nc_u32_e32 v1, 4, v1
	v_add_nc_u32_e32 v5, 0x110, v5
	s_wait_dscnt 0x0
	global_store_b32 v8, v6, s[20:21] scale_offset
	v_cmp_le_i32_e32 vcc_lo, s13, v1
	s_or_b32 s12, vcc_lo, s12
	s_wait_xcnt 0x0
	s_and_not1_b32 exec_lo, exec_lo, s12
	s_cbranch_execz .LBB3_168
.LBB3_179:                              ;   Parent Loop BB3_169 Depth=1
                                        ; =>  This Inner Loop Header: Depth=2
	ds_load_b32 v6, v5
	s_and_b32 vcc_lo, exec_lo, s7
	s_mov_b32 s16, -1
                                        ; implicit-def: $vgpr8
	s_cbranch_vccz .LBB3_181
; %bb.180:                              ;   in Loop: Header=BB3_179 Depth=2
	v_add_nc_u32_e32 v8, s5, v1
	s_mov_b32 s16, 0
	s_delay_alu instid0(VALU_DEP_1)
	v_mad_u32 v8, v8, s13, v4
.LBB3_181:                              ;   in Loop: Header=BB3_179 Depth=2
	s_and_not1_b32 vcc_lo, exec_lo, s16
	s_cbranch_vccnz .LBB3_178
; %bb.182:                              ;   in Loop: Header=BB3_179 Depth=2
	v_add_nc_u32_e32 v8, v12, v1
	s_branch .LBB3_178
.LBB3_183:
	s_or_b32 exec_lo, exec_lo, s4
.LBB3_184:
	s_add_co_i32 s7, s35, 1
	s_delay_alu instid0(SALU_CYCLE_1)
	s_cmp_ge_i32 s7, s15
	s_cbranch_scc1 .LBB3_250
; %bb.185:
	s_wait_dscnt 0x0
	v_bfe_u32 v2, v0, 10, 10
	v_and_b32_e32 v7, 0x3ff, v0
	s_cmp_lg_u32 s36, 0
	s_movk_i32 s6, 0x444
	s_cselect_b32 s8, -1, 0
	v_xad_u32 v1, v2, -1, s13
	v_mad_u32 v5, s13, s7, v7
	v_lshlrev_b32_e32 v6, 2, v2
	s_cmp_eq_u32 s36, 0
	v_lshl_add_u32 v11, v7, 2, 0x440
	v_dual_lshrrev_b32 v4, 2, v1 :: v_dual_add_nc_u32 v10, 1, v2
	v_add_nc_u32_e32 v3, 4, v2
	s_cselect_b32 s0, -1, 0
	s_cmp_gt_i32 s13, 0
	s_delay_alu instid0(VALU_DEP_2)
	v_add_nc_u32_e32 v4, 1, v4
	s_cselect_b32 s9, -1, 0
	s_cmp_lg_u32 s13, 1
	v_cmp_lt_u32_e64 s4, 3, v1
	v_mad_u32_u24 v1, 0x44, v7, v6
	v_and_b32_e32 v12, 0x7ffffffe, v4
	s_cselect_b32 s10, -1, 0
	s_and_b32 s11, s13, 0x7ffffffe
	s_bitcmp1_b32 s13, 0
	v_cmp_gt_i32_e64 s1, s13, v7
	v_lshl_add_u32 v13, v12, 2, v2
	v_cmp_le_i32_e64 s2, s13, v7
	v_cmp_gt_i32_e64 s3, s13, v2
	v_cmp_ne_u32_e64 s5, v4, v12
	v_mul_u32_u24_e32 v14, 0x44, v2
	v_mad_u32_u24 v15, 0x44, v2, v11
	v_mul_lo_u32 v16, s13, v5
	v_add_nc_u32_e32 v17, 0x444, v1
	v_add_nc_u32_e32 v18, 4, v6
	;; [unrolled: 1-line block ×3, first 2 shown]
	v_mul_lo_u32 v20, 0x44, v13
	v_add_nc_u32_e32 v21, 0x448, v1
	v_mad_u32_u24 v22, 0x44, v7, s6
	s_cselect_b32 s12, -1, 0
	s_mov_b32 s16, s13
	s_mul_i32 s17, s13, s13
	s_lshl_b32 s18, s13, 4
	s_branch .LBB3_188
.LBB3_186:                              ;   in Loop: Header=BB3_188 Depth=1
	s_or_b32 exec_lo, exec_lo, s19
.LBB3_187:                              ;   in Loop: Header=BB3_188 Depth=1
	s_delay_alu instid0(SALU_CYCLE_1) | instskip(SKIP_2) | instid1(SALU_CYCLE_1)
	s_or_b32 exec_lo, exec_lo, s6
	v_add_nc_u32_e32 v16, s17, v16
	s_add_co_i32 s7, s7, 1
	s_cmp_ge_i32 s7, s15
	s_cbranch_scc1 .LBB3_250
.LBB3_188:                              ; =>This Loop Header: Depth=1
                                        ;     Child Loop BB3_191 Depth 2
                                        ;       Child Loop BB3_194 Depth 3
                                        ;       Child Loop BB3_201 Depth 3
                                        ;     Child Loop BB3_209 Depth 2
                                        ;       Child Loop BB3_212 Depth 3
                                        ;         Child Loop BB3_214 Depth 4
                                        ;       Child Loop BB3_217 Depth 3
                                        ;         Child Loop BB3_219 Depth 4
                                        ;     Child Loop BB3_226 Depth 2
                                        ;       Child Loop BB3_228 Depth 3
                                        ;     Child Loop BB3_236 Depth 2
                                        ;       Child Loop BB3_239 Depth 3
                                        ;       Child Loop BB3_246 Depth 3
	s_wait_storecnt 0x0
	s_and_saveexec_b32 s6, s1
	s_cbranch_execz .LBB3_205
; %bb.189:                              ;   in Loop: Header=BB3_188 Depth=1
	v_dual_mov_b32 v23, v11 :: v_dual_mov_b32 v24, v16
	v_dual_mov_b32 v25, v15 :: v_dual_mov_b32 v4, v7
	s_mul_i32 s19, s7, s13
	s_mov_b32 s23, 0
	s_mov_b32 s22, s19
	s_branch .LBB3_191
.LBB3_190:                              ;   in Loop: Header=BB3_191 Depth=2
	s_or_b32 exec_lo, exec_lo, s24
	v_dual_add_nc_u32 v4, 16, v4 :: v_dual_add_nc_u32 v25, 64, v25
	v_dual_add_nc_u32 v24, s18, v24 :: v_dual_add_nc_u32 v23, 64, v23
	s_delay_alu instid0(VALU_DEP_2) | instskip(SKIP_1) | instid1(SALU_CYCLE_1)
	v_cmp_le_i32_e32 vcc_lo, s13, v4
	s_or_b32 s23, vcc_lo, s23
	s_and_not1_b32 exec_lo, exec_lo, s23
	s_cbranch_execz .LBB3_205
.LBB3_191:                              ;   Parent Loop BB3_188 Depth=1
                                        ; =>  This Loop Header: Depth=2
                                        ;       Child Loop BB3_194 Depth 3
                                        ;       Child Loop BB3_201 Depth 3
	s_and_saveexec_b32 s24, s3
	s_cbranch_execz .LBB3_190
; %bb.192:                              ;   in Loop: Header=BB3_191 Depth=2
	v_dual_mov_b32 v1, v2 :: v_dual_mov_b32 v5, v14
	s_mov_b32 s35, -1
	s_and_saveexec_b32 s25, s4
	s_cbranch_execz .LBB3_198
; %bb.193:                              ;   in Loop: Header=BB3_191 Depth=2
	v_dual_mov_b32 v26, v12 :: v_dual_add_nc_u32 v1, s19, v4
	v_mov_b64_e32 v[8:9], v[2:3]
	s_mov_b32 s35, 0
	v_mov_b32_e32 v27, v25
	s_delay_alu instid0(VALU_DEP_3) | instskip(NEXT) | instid1(VALU_DEP_1)
	v_mul_lo_u32 v6, v1, s13
	v_dual_mov_b32 v1, v4 :: v_dual_mov_b32 v5, v6
.LBB3_194:                              ;   Parent Loop BB3_188 Depth=1
                                        ;     Parent Loop BB3_191 Depth=2
                                        ; =>    This Inner Loop Header: Depth=3
	s_delay_alu instid0(VALU_DEP_4) | instskip(NEXT) | instid1(VALU_DEP_2)
	v_dual_add_nc_u32 v28, s19, v8 :: v_dual_add_nc_u32 v29, s22, v9
	v_dual_add_nc_u32 v30, v8, v6 :: v_dual_add_nc_u32 v31, v9, v5
	v_dual_add_nc_u32 v26, -2, v26 :: v_dual_add_nc_u32 v9, 8, v9
	s_delay_alu instid0(VALU_DEP_3) | instskip(NEXT) | instid1(VALU_DEP_4)
	v_mad_u32 v28, v28, s13, v4
	v_mad_u32 v29, v29, s16, v1
	v_add_nc_u32_e32 v8, 8, v8
	s_delay_alu instid0(VALU_DEP_4) | instskip(SKIP_1) | instid1(VALU_DEP_3)
	v_cmp_eq_u32_e32 vcc_lo, 0, v26
	s_or_b32 s35, vcc_lo, s35
	v_dual_cndmask_b32 v28, v28, v30, s0 :: v_dual_cndmask_b32 v29, v29, v31, s0
	s_clause 0x1
	global_load_b32 v30, v28, s[20:21] scale_offset
	global_load_b32 v31, v29, s[20:21] scale_offset
	s_wait_loadcnt 0x0
	ds_store_2addr_b32 v27, v30, v31 offset1:68
	v_add_nc_u32_e32 v27, 0x220, v27
	s_wait_xcnt 0x0
	s_and_not1_b32 exec_lo, exec_lo, s35
	s_cbranch_execnz .LBB3_194
; %bb.195:                              ;   in Loop: Header=BB3_191 Depth=2
	s_or_b32 exec_lo, exec_lo, s35
	s_mov_b32 s35, 0
	s_and_saveexec_b32 s36, s5
; %bb.196:                              ;   in Loop: Header=BB3_191 Depth=2
	s_mov_b32 s35, exec_lo
; %bb.197:                              ;   in Loop: Header=BB3_191 Depth=2
	s_or_b32 exec_lo, exec_lo, s36
	v_dual_mov_b32 v1, v13 :: v_dual_mov_b32 v5, v20
	s_or_not1_b32 s35, s35, exec_lo
.LBB3_198:                              ;   in Loop: Header=BB3_191 Depth=2
	s_or_b32 exec_lo, exec_lo, s25
	s_delay_alu instid0(SALU_CYCLE_1)
	s_and_b32 exec_lo, exec_lo, s35
	s_cbranch_execz .LBB3_190
; %bb.199:                              ;   in Loop: Header=BB3_191 Depth=2
	v_add_nc_u32_e32 v5, v23, v5
	s_mov_b32 s25, 0
	s_branch .LBB3_201
.LBB3_200:                              ;   in Loop: Header=BB3_201 Depth=3
	global_load_b32 v6, v6, s[20:21] scale_offset
	v_add_nc_u32_e32 v1, 4, v1
	s_delay_alu instid0(VALU_DEP_1)
	v_cmp_le_i32_e32 vcc_lo, s13, v1
	s_or_b32 s25, vcc_lo, s25
	s_wait_loadcnt 0x0
	ds_store_b32 v5, v6
	v_add_nc_u32_e32 v5, 0x110, v5
	s_and_not1_b32 exec_lo, exec_lo, s25
	s_cbranch_execz .LBB3_190
.LBB3_201:                              ;   Parent Loop BB3_188 Depth=1
                                        ;     Parent Loop BB3_191 Depth=2
                                        ; =>    This Inner Loop Header: Depth=3
	s_and_b32 vcc_lo, exec_lo, s8
	s_mov_b32 s35, -1
                                        ; implicit-def: $vgpr6
	s_cbranch_vccz .LBB3_203
; %bb.202:                              ;   in Loop: Header=BB3_201 Depth=3
	v_add_nc_u32_e32 v6, s19, v1
	s_mov_b32 s35, 0
	s_delay_alu instid0(VALU_DEP_1)
	v_mad_u32 v6, v6, s13, v4
.LBB3_203:                              ;   in Loop: Header=BB3_201 Depth=3
	s_and_not1_b32 vcc_lo, exec_lo, s35
	s_cbranch_vccnz .LBB3_200
; %bb.204:                              ;   in Loop: Header=BB3_201 Depth=3
	v_add_nc_u32_e32 v6, v24, v1
	s_branch .LBB3_200
.LBB3_205:                              ;   in Loop: Header=BB3_188 Depth=1
	s_or_b32 exec_lo, exec_lo, s6
	s_delay_alu instid0(SALU_CYCLE_1)
	s_and_not1_b32 vcc_lo, exec_lo, s9
	s_wait_dscnt 0x0
	s_cbranch_vccnz .LBB3_229
; %bb.206:                              ;   in Loop: Header=BB3_188 Depth=1
	s_and_not1_b32 vcc_lo, exec_lo, s10
	s_mov_b32 s6, 0
	s_cbranch_vccnz .LBB3_220
; %bb.207:                              ;   in Loop: Header=BB3_188 Depth=1
	v_dual_mov_b32 v1, v21 :: v_dual_mov_b32 v4, v19
	v_dual_mov_b32 v5, v18 :: v_dual_mov_b32 v6, v17
	s_mov_b32 s19, 0
	s_branch .LBB3_209
.LBB3_208:                              ;   in Loop: Header=BB3_209 Depth=2
	s_or_b32 exec_lo, exec_lo, s22
	v_dual_add_nc_u32 v6, 8, v6 :: v_dual_add_nc_u32 v1, 8, v1
	v_add_nc_u32_e32 v5, 0x90, v5
	v_add_nc_u32_e32 v4, 0x90, v4
	s_add_co_i32 s19, s19, 2
	s_mov_b32 s6, s11
	s_cmp_eq_u32 s19, s11
	s_cbranch_scc1 .LBB3_220
.LBB3_209:                              ;   Parent Loop BB3_188 Depth=1
                                        ; =>  This Loop Header: Depth=2
                                        ;       Child Loop BB3_212 Depth 3
                                        ;         Child Loop BB3_214 Depth 4
                                        ;       Child Loop BB3_217 Depth 3
                                        ;         Child Loop BB3_219 Depth 4
	s_and_saveexec_b32 s22, s1
	s_cbranch_execz .LBB3_208
; %bb.210:                              ;   in Loop: Header=BB3_209 Depth=2
	v_dual_mov_b32 v9, v6 :: v_dual_add_nc_u32 v8, s19, v10
	v_mov_b32_e32 v23, v7
	s_lshl_b32 s23, s19, 2
	s_mov_b32 s24, 0
	s_addk_co_i32 s23, 0x440
	v_cmp_gt_i32_e32 vcc_lo, s13, v8
	s_branch .LBB3_212
.LBB3_211:                              ;   in Loop: Header=BB3_212 Depth=3
	s_or_b32 exec_lo, exec_lo, s25
	v_add_nc_u32_e32 v23, 16, v23
	v_add_nc_u32_e32 v9, 0x440, v9
	s_delay_alu instid0(VALU_DEP_2) | instskip(SKIP_1) | instid1(SALU_CYCLE_1)
	v_cmp_le_i32_e64 s6, s13, v23
	s_or_b32 s24, s6, s24
	s_and_not1_b32 exec_lo, exec_lo, s24
	s_cbranch_execz .LBB3_215
.LBB3_212:                              ;   Parent Loop BB3_188 Depth=1
                                        ;     Parent Loop BB3_209 Depth=2
                                        ; =>    This Loop Header: Depth=3
                                        ;         Child Loop BB3_214 Depth 4
	s_and_saveexec_b32 s25, vcc_lo
	s_cbranch_execz .LBB3_211
; %bb.213:                              ;   in Loop: Header=BB3_212 Depth=3
	v_mad_u32 v24, 0x44, v23, s23
	v_dual_mov_b32 v25, v5 :: v_dual_mov_b32 v26, v9
	v_mov_b32_e32 v27, v8
	s_mov_b32 s35, 0
.LBB3_214:                              ;   Parent Loop BB3_188 Depth=1
                                        ;     Parent Loop BB3_209 Depth=2
                                        ;       Parent Loop BB3_212 Depth=3
                                        ; =>      This Inner Loop Header: Depth=4
	ds_load_b32 v28, v25
	ds_load_b32 v29, v24
	;; [unrolled: 1-line block ×3, first 2 shown]
	v_dual_add_nc_u32 v27, 4, v27 :: v_dual_add_nc_u32 v25, 16, v25
	s_wait_dscnt 0x0
	v_fma_f32 v28, -v28, v29, v30
	s_delay_alu instid0(VALU_DEP_2) | instskip(SKIP_3) | instid1(SALU_CYCLE_1)
	v_cmp_le_i32_e64 s6, s13, v27
	ds_store_b32 v26, v28
	v_add_nc_u32_e32 v26, 16, v26
	s_or_b32 s35, s6, s35
	s_and_not1_b32 exec_lo, exec_lo, s35
	s_cbranch_execnz .LBB3_214
	s_branch .LBB3_211
.LBB3_215:                              ;   in Loop: Header=BB3_209 Depth=2
	s_or_b32 exec_lo, exec_lo, s24
	v_add3_u32 v8, v10, s19, 1
	v_dual_mov_b32 v9, v1 :: v_dual_mov_b32 v23, v7
	s_mov_b32 s24, 0
	s_delay_alu instid0(VALU_DEP_2)
	v_cmp_gt_i32_e32 vcc_lo, s13, v8
	s_branch .LBB3_217
.LBB3_216:                              ;   in Loop: Header=BB3_217 Depth=3
	s_or_b32 exec_lo, exec_lo, s25
	v_add_nc_u32_e32 v23, 16, v23
	v_add_nc_u32_e32 v9, 0x440, v9
	s_delay_alu instid0(VALU_DEP_2) | instskip(SKIP_1) | instid1(SALU_CYCLE_1)
	v_cmp_le_i32_e64 s6, s13, v23
	s_or_b32 s24, s6, s24
	s_and_not1_b32 exec_lo, exec_lo, s24
	s_cbranch_execz .LBB3_208
.LBB3_217:                              ;   Parent Loop BB3_188 Depth=1
                                        ;     Parent Loop BB3_209 Depth=2
                                        ; =>    This Loop Header: Depth=3
                                        ;         Child Loop BB3_219 Depth 4
	s_and_saveexec_b32 s25, vcc_lo
	s_cbranch_execz .LBB3_216
; %bb.218:                              ;   in Loop: Header=BB3_217 Depth=3
	v_mad_u32 v24, 0x44, v23, s23
	v_dual_mov_b32 v25, v9 :: v_dual_mov_b32 v26, v4
	v_mov_b32_e32 v27, v8
	s_mov_b32 s35, 0
.LBB3_219:                              ;   Parent Loop BB3_188 Depth=1
                                        ;     Parent Loop BB3_209 Depth=2
                                        ;       Parent Loop BB3_217 Depth=3
                                        ; =>      This Inner Loop Header: Depth=4
	ds_load_b32 v28, v26
	ds_load_b32 v29, v24 offset:4
	ds_load_b32 v30, v25
	v_dual_add_nc_u32 v27, 4, v27 :: v_dual_add_nc_u32 v26, 16, v26
	s_wait_dscnt 0x0
	v_fma_f32 v28, -v28, v29, v30
	s_delay_alu instid0(VALU_DEP_2) | instskip(SKIP_3) | instid1(SALU_CYCLE_1)
	v_cmp_le_i32_e64 s6, s13, v27
	ds_store_b32 v25, v28
	v_add_nc_u32_e32 v25, 16, v25
	s_or_b32 s35, s6, s35
	s_and_not1_b32 exec_lo, exec_lo, s35
	s_cbranch_execnz .LBB3_219
	s_branch .LBB3_216
.LBB3_220:                              ;   in Loop: Header=BB3_188 Depth=1
	s_and_not1_b32 vcc_lo, exec_lo, s12
	s_mov_b32 s22, -1
	s_cbranch_vccnz .LBB3_230
; %bb.221:                              ;   in Loop: Header=BB3_188 Depth=1
	s_and_saveexec_b32 s19, s2
	s_delay_alu instid0(SALU_CYCLE_1)
	s_xor_b32 s19, exec_lo, s19
	s_cbranch_execz .LBB3_223
; %bb.222:                              ;   in Loop: Header=BB3_188 Depth=1
	s_wait_dscnt 0x0
.LBB3_223:                              ;   in Loop: Header=BB3_188 Depth=1
	s_or_saveexec_b32 s19, s19
	s_mov_b32 s22, 0
	s_xor_b32 exec_lo, exec_lo, s19
	s_cbranch_execz .LBB3_232
; %bb.224:                              ;   in Loop: Header=BB3_188 Depth=1
	v_mad_u32 v4, 0x48, s6, v18
	v_add_nc_u32_e32 v5, s6, v2
	v_dual_mov_b32 v6, v7 :: v_dual_add_nc_u32 v1, s6, v10
	s_lshl_b32 s23, s6, 2
	s_delay_alu instid0(VALU_DEP_2) | instskip(SKIP_1) | instid1(VALU_DEP_2)
	v_lshl_add_u32 v5, v5, 2, v22
	s_addk_co_i32 s23, 0x440
	v_cmp_gt_i32_e32 vcc_lo, s13, v1
	s_branch .LBB3_226
.LBB3_225:                              ;   in Loop: Header=BB3_226 Depth=2
	s_or_b32 exec_lo, exec_lo, s24
	v_add_nc_u32_e32 v6, 16, v6
	v_add_nc_u32_e32 v5, 0x440, v5
	s_delay_alu instid0(VALU_DEP_2) | instskip(SKIP_1) | instid1(SALU_CYCLE_1)
	v_cmp_le_i32_e64 s6, s13, v6
	s_or_b32 s22, s6, s22
	s_and_not1_b32 exec_lo, exec_lo, s22
	s_cbranch_execz .LBB3_231
.LBB3_226:                              ;   Parent Loop BB3_188 Depth=1
                                        ; =>  This Loop Header: Depth=2
                                        ;       Child Loop BB3_228 Depth 3
	s_and_saveexec_b32 s24, vcc_lo
	s_cbranch_execz .LBB3_225
; %bb.227:                              ;   in Loop: Header=BB3_226 Depth=2
	v_mad_u32 v8, 0x44, v6, s23
	v_dual_mov_b32 v9, v4 :: v_dual_mov_b32 v23, v5
	v_mov_b32_e32 v24, v1
	s_mov_b32 s25, 0
.LBB3_228:                              ;   Parent Loop BB3_188 Depth=1
                                        ;     Parent Loop BB3_226 Depth=2
                                        ; =>    This Inner Loop Header: Depth=3
	ds_load_b32 v25, v9
	ds_load_b32 v26, v8
	;; [unrolled: 1-line block ×3, first 2 shown]
	v_dual_add_nc_u32 v24, 4, v24 :: v_dual_add_nc_u32 v9, 16, v9
	s_wait_dscnt 0x0
	v_fma_f32 v25, -v25, v26, v27
	s_delay_alu instid0(VALU_DEP_2) | instskip(SKIP_3) | instid1(SALU_CYCLE_1)
	v_cmp_le_i32_e64 s6, s13, v24
	ds_store_b32 v23, v25
	v_add_nc_u32_e32 v23, 16, v23
	s_or_b32 s25, s6, s25
	s_and_not1_b32 exec_lo, exec_lo, s25
	s_cbranch_execnz .LBB3_228
	s_branch .LBB3_225
.LBB3_229:                              ;   in Loop: Header=BB3_188 Depth=1
	s_mov_b32 s22, -1
.LBB3_230:                              ;   in Loop: Header=BB3_188 Depth=1
	s_delay_alu instid0(SALU_CYCLE_1) | instskip(NEXT) | instid1(SALU_CYCLE_1)
	s_and_saveexec_b32 s6, s22
	s_xor_b32 s6, exec_lo, s6
	s_cbranch_execz .LBB3_187
	s_branch .LBB3_233
.LBB3_231:                              ;   in Loop: Header=BB3_188 Depth=1
	s_or_b32 exec_lo, exec_lo, s22
	s_delay_alu instid0(SALU_CYCLE_1)
	s_mov_b32 s22, exec_lo
.LBB3_232:                              ;   in Loop: Header=BB3_188 Depth=1
	s_or_b32 exec_lo, exec_lo, s19
	s_and_saveexec_b32 s6, s22
	s_delay_alu instid0(SALU_CYCLE_1)
	s_xor_b32 s6, exec_lo, s6
	s_cbranch_execz .LBB3_187
.LBB3_233:                              ;   in Loop: Header=BB3_188 Depth=1
	s_wait_dscnt 0x0
	s_and_saveexec_b32 s19, s1
	s_cbranch_execz .LBB3_186
; %bb.234:                              ;   in Loop: Header=BB3_188 Depth=1
	v_dual_mov_b32 v23, v11 :: v_dual_mov_b32 v24, v16
	v_dual_mov_b32 v25, v15 :: v_dual_mov_b32 v4, v7
	s_mul_i32 s22, s7, s13
	s_mov_b32 s24, 0
	s_mov_b32 s23, s22
	s_branch .LBB3_236
.LBB3_235:                              ;   in Loop: Header=BB3_236 Depth=2
	s_or_b32 exec_lo, exec_lo, s25
	v_dual_add_nc_u32 v4, 16, v4 :: v_dual_add_nc_u32 v25, 64, v25
	v_dual_add_nc_u32 v24, s18, v24 :: v_dual_add_nc_u32 v23, 64, v23
	s_delay_alu instid0(VALU_DEP_2) | instskip(SKIP_1) | instid1(SALU_CYCLE_1)
	v_cmp_le_i32_e32 vcc_lo, s13, v4
	s_or_b32 s24, vcc_lo, s24
	s_and_not1_b32 exec_lo, exec_lo, s24
	s_cbranch_execz .LBB3_186
.LBB3_236:                              ;   Parent Loop BB3_188 Depth=1
                                        ; =>  This Loop Header: Depth=2
                                        ;       Child Loop BB3_239 Depth 3
                                        ;       Child Loop BB3_246 Depth 3
	s_and_saveexec_b32 s25, s3
	s_cbranch_execz .LBB3_235
; %bb.237:                              ;   in Loop: Header=BB3_236 Depth=2
	v_dual_mov_b32 v1, v2 :: v_dual_mov_b32 v5, v14
	s_mov_b32 s36, -1
	s_and_saveexec_b32 s35, s4
	s_cbranch_execz .LBB3_243
; %bb.238:                              ;   in Loop: Header=BB3_236 Depth=2
	v_dual_mov_b32 v26, v12 :: v_dual_add_nc_u32 v1, s22, v4
	v_mov_b64_e32 v[8:9], v[2:3]
	s_mov_b32 s36, 0
	v_mov_b32_e32 v27, v25
	s_delay_alu instid0(VALU_DEP_3) | instskip(NEXT) | instid1(VALU_DEP_1)
	v_mul_lo_u32 v6, v1, s13
	v_dual_mov_b32 v1, v4 :: v_dual_mov_b32 v5, v6
.LBB3_239:                              ;   Parent Loop BB3_188 Depth=1
                                        ;     Parent Loop BB3_236 Depth=2
                                        ; =>    This Inner Loop Header: Depth=3
	s_delay_alu instid0(VALU_DEP_4)
	v_dual_add_nc_u32 v30, s23, v9 :: v_dual_add_nc_u32 v31, s22, v8
	ds_load_2addr_b32 v[28:29], v27 offset1:68
	v_dual_add_nc_u32 v26, -2, v26 :: v_dual_add_nc_u32 v33, v9, v5
	v_mad_u32 v30, v30, s16, v1
	v_mad_u32 v31, v31, s13, v4
	v_dual_add_nc_u32 v32, v8, v6 :: v_dual_add_nc_u32 v9, 8, v9
	s_delay_alu instid0(VALU_DEP_4)
	v_cmp_eq_u32_e32 vcc_lo, 0, v26
	v_add_nc_u32_e32 v8, 8, v8
	v_add_nc_u32_e32 v27, 0x220, v27
	s_or_b32 s36, vcc_lo, s36
	v_dual_cndmask_b32 v30, v30, v33, s0 :: v_dual_cndmask_b32 v31, v31, v32, s0
	s_wait_dscnt 0x0
	s_clause 0x1
	global_store_b32 v31, v28, s[20:21] scale_offset
	global_store_b32 v30, v29, s[20:21] scale_offset
	s_wait_xcnt 0x0
	s_and_not1_b32 exec_lo, exec_lo, s36
	s_cbranch_execnz .LBB3_239
; %bb.240:                              ;   in Loop: Header=BB3_236 Depth=2
	s_or_b32 exec_lo, exec_lo, s36
	s_mov_b32 s36, 0
	s_and_saveexec_b32 s37, s5
; %bb.241:                              ;   in Loop: Header=BB3_236 Depth=2
	s_mov_b32 s36, exec_lo
; %bb.242:                              ;   in Loop: Header=BB3_236 Depth=2
	s_or_b32 exec_lo, exec_lo, s37
	v_dual_mov_b32 v1, v13 :: v_dual_mov_b32 v5, v20
	s_or_not1_b32 s36, s36, exec_lo
.LBB3_243:                              ;   in Loop: Header=BB3_236 Depth=2
	s_or_b32 exec_lo, exec_lo, s35
	s_delay_alu instid0(SALU_CYCLE_1)
	s_and_b32 exec_lo, exec_lo, s36
	s_cbranch_execz .LBB3_235
; %bb.244:                              ;   in Loop: Header=BB3_236 Depth=2
	v_add_nc_u32_e32 v5, v23, v5
	s_mov_b32 s35, 0
	s_branch .LBB3_246
.LBB3_245:                              ;   in Loop: Header=BB3_246 Depth=3
	v_add_nc_u32_e32 v1, 4, v1
	v_add_nc_u32_e32 v5, 0x110, v5
	s_wait_dscnt 0x0
	global_store_b32 v8, v6, s[20:21] scale_offset
	v_cmp_le_i32_e32 vcc_lo, s13, v1
	s_or_b32 s35, vcc_lo, s35
	s_wait_xcnt 0x0
	s_and_not1_b32 exec_lo, exec_lo, s35
	s_cbranch_execz .LBB3_235
.LBB3_246:                              ;   Parent Loop BB3_188 Depth=1
                                        ;     Parent Loop BB3_236 Depth=2
                                        ; =>    This Inner Loop Header: Depth=3
	ds_load_b32 v6, v5
	s_and_b32 vcc_lo, exec_lo, s8
	s_mov_b32 s36, -1
                                        ; implicit-def: $vgpr8
	s_cbranch_vccz .LBB3_248
; %bb.247:                              ;   in Loop: Header=BB3_246 Depth=3
	v_add_nc_u32_e32 v8, s22, v1
	s_mov_b32 s36, 0
	s_delay_alu instid0(VALU_DEP_1)
	v_mad_u32 v8, v8, s13, v4
.LBB3_248:                              ;   in Loop: Header=BB3_246 Depth=3
	s_and_not1_b32 vcc_lo, exec_lo, s36
	s_cbranch_vccnz .LBB3_245
; %bb.249:                              ;   in Loop: Header=BB3_246 Depth=3
	v_add_nc_u32_e32 v8, v24, v1
	s_branch .LBB3_245
.LBB3_250:
	v_and_b32_e32 v0, 0xfffff, v0
	s_mov_b32 s0, exec_lo
	s_delay_alu instid0(VALU_DEP_1)
	v_cmpx_eq_u32_e32 0, v0
	s_cbranch_execz .LBB3_254
; %bb.251:
	v_dual_mov_b32 v0, 0 :: v_dual_mov_b32 v1, 1
	s_add_nc_u64 s[0:1], s[28:29], s[30:31]
	s_and_not1_b32 vcc_lo, exec_lo, s33
	global_wb scope:SCOPE_DEV
	s_wait_storecnt 0x0
	s_wait_loadcnt_dscnt 0x0
	global_store_b32 v0, v1, s[0:1] scope:SCOPE_DEV
	s_cbranch_vccnz .LBB3_254
; %bb.252:
	s_wait_xcnt 0x0
	v_mbcnt_lo_u32_b32 v0, exec_lo, 0
	s_delay_alu instid0(VALU_DEP_1)
	v_cmp_eq_u32_e32 vcc_lo, 0, v0
	s_and_b32 exec_lo, exec_lo, vcc_lo
	s_cbranch_execz .LBB3_254
; %bb.253:
	s_add_co_i32 s0, s34, s14
	s_delay_alu instid0(SALU_CYCLE_1)
	v_dual_mov_b32 v0, 0 :: v_dual_mov_b32 v1, s0
	global_atomic_min_i32 v0, v1, s[26:27] scope:SCOPE_DEV
.LBB3_254:
	s_endpgm
	.section	.rodata,"a",@progbits
	.p2align	6, 0x0
	.amdhsa_kernel _ZN9rocsparseL12bsrilu0_9_32ILj64ELj64ELj16EfEEv20rocsparse_direction_iPKiS3_PT2_S3_iPiS3_S6_21rocsparse_index_base_imNS_24const_host_device_scalarIfEENS8_IdEENS8_IS4_EEb
		.amdhsa_group_segment_fixed_size 2176
		.amdhsa_private_segment_fixed_size 0
		.amdhsa_kernarg_size 116
		.amdhsa_user_sgpr_count 2
		.amdhsa_user_sgpr_dispatch_ptr 0
		.amdhsa_user_sgpr_queue_ptr 0
		.amdhsa_user_sgpr_kernarg_segment_ptr 1
		.amdhsa_user_sgpr_dispatch_id 0
		.amdhsa_user_sgpr_kernarg_preload_length 0
		.amdhsa_user_sgpr_kernarg_preload_offset 0
		.amdhsa_user_sgpr_private_segment_size 0
		.amdhsa_wavefront_size32 1
		.amdhsa_uses_dynamic_stack 0
		.amdhsa_enable_private_segment 0
		.amdhsa_system_sgpr_workgroup_id_x 1
		.amdhsa_system_sgpr_workgroup_id_y 0
		.amdhsa_system_sgpr_workgroup_id_z 0
		.amdhsa_system_sgpr_workgroup_info 0
		.amdhsa_system_vgpr_workitem_id 1
		.amdhsa_next_free_vgpr 52
		.amdhsa_next_free_sgpr 59
		.amdhsa_named_barrier_count 0
		.amdhsa_reserve_vcc 1
		.amdhsa_float_round_mode_32 0
		.amdhsa_float_round_mode_16_64 0
		.amdhsa_float_denorm_mode_32 3
		.amdhsa_float_denorm_mode_16_64 3
		.amdhsa_fp16_overflow 0
		.amdhsa_memory_ordered 1
		.amdhsa_forward_progress 1
		.amdhsa_inst_pref_size 68
		.amdhsa_round_robin_scheduling 0
		.amdhsa_exception_fp_ieee_invalid_op 0
		.amdhsa_exception_fp_denorm_src 0
		.amdhsa_exception_fp_ieee_div_zero 0
		.amdhsa_exception_fp_ieee_overflow 0
		.amdhsa_exception_fp_ieee_underflow 0
		.amdhsa_exception_fp_ieee_inexact 0
		.amdhsa_exception_int_div_zero 0
	.end_amdhsa_kernel
	.section	.text._ZN9rocsparseL12bsrilu0_9_32ILj64ELj64ELj16EfEEv20rocsparse_direction_iPKiS3_PT2_S3_iPiS3_S6_21rocsparse_index_base_imNS_24const_host_device_scalarIfEENS8_IdEENS8_IS4_EEb,"axG",@progbits,_ZN9rocsparseL12bsrilu0_9_32ILj64ELj64ELj16EfEEv20rocsparse_direction_iPKiS3_PT2_S3_iPiS3_S6_21rocsparse_index_base_imNS_24const_host_device_scalarIfEENS8_IdEENS8_IS4_EEb,comdat
.Lfunc_end3:
	.size	_ZN9rocsparseL12bsrilu0_9_32ILj64ELj64ELj16EfEEv20rocsparse_direction_iPKiS3_PT2_S3_iPiS3_S6_21rocsparse_index_base_imNS_24const_host_device_scalarIfEENS8_IdEENS8_IS4_EEb, .Lfunc_end3-_ZN9rocsparseL12bsrilu0_9_32ILj64ELj64ELj16EfEEv20rocsparse_direction_iPKiS3_PT2_S3_iPiS3_S6_21rocsparse_index_base_imNS_24const_host_device_scalarIfEENS8_IdEENS8_IS4_EEb
                                        ; -- End function
	.set _ZN9rocsparseL12bsrilu0_9_32ILj64ELj64ELj16EfEEv20rocsparse_direction_iPKiS3_PT2_S3_iPiS3_S6_21rocsparse_index_base_imNS_24const_host_device_scalarIfEENS8_IdEENS8_IS4_EEb.num_vgpr, 52
	.set _ZN9rocsparseL12bsrilu0_9_32ILj64ELj64ELj16EfEEv20rocsparse_direction_iPKiS3_PT2_S3_iPiS3_S6_21rocsparse_index_base_imNS_24const_host_device_scalarIfEENS8_IdEENS8_IS4_EEb.num_agpr, 0
	.set _ZN9rocsparseL12bsrilu0_9_32ILj64ELj64ELj16EfEEv20rocsparse_direction_iPKiS3_PT2_S3_iPiS3_S6_21rocsparse_index_base_imNS_24const_host_device_scalarIfEENS8_IdEENS8_IS4_EEb.numbered_sgpr, 59
	.set _ZN9rocsparseL12bsrilu0_9_32ILj64ELj64ELj16EfEEv20rocsparse_direction_iPKiS3_PT2_S3_iPiS3_S6_21rocsparse_index_base_imNS_24const_host_device_scalarIfEENS8_IdEENS8_IS4_EEb.num_named_barrier, 0
	.set _ZN9rocsparseL12bsrilu0_9_32ILj64ELj64ELj16EfEEv20rocsparse_direction_iPKiS3_PT2_S3_iPiS3_S6_21rocsparse_index_base_imNS_24const_host_device_scalarIfEENS8_IdEENS8_IS4_EEb.private_seg_size, 0
	.set _ZN9rocsparseL12bsrilu0_9_32ILj64ELj64ELj16EfEEv20rocsparse_direction_iPKiS3_PT2_S3_iPiS3_S6_21rocsparse_index_base_imNS_24const_host_device_scalarIfEENS8_IdEENS8_IS4_EEb.uses_vcc, 1
	.set _ZN9rocsparseL12bsrilu0_9_32ILj64ELj64ELj16EfEEv20rocsparse_direction_iPKiS3_PT2_S3_iPiS3_S6_21rocsparse_index_base_imNS_24const_host_device_scalarIfEENS8_IdEENS8_IS4_EEb.uses_flat_scratch, 0
	.set _ZN9rocsparseL12bsrilu0_9_32ILj64ELj64ELj16EfEEv20rocsparse_direction_iPKiS3_PT2_S3_iPiS3_S6_21rocsparse_index_base_imNS_24const_host_device_scalarIfEENS8_IdEENS8_IS4_EEb.has_dyn_sized_stack, 0
	.set _ZN9rocsparseL12bsrilu0_9_32ILj64ELj64ELj16EfEEv20rocsparse_direction_iPKiS3_PT2_S3_iPiS3_S6_21rocsparse_index_base_imNS_24const_host_device_scalarIfEENS8_IdEENS8_IS4_EEb.has_recursion, 0
	.set _ZN9rocsparseL12bsrilu0_9_32ILj64ELj64ELj16EfEEv20rocsparse_direction_iPKiS3_PT2_S3_iPiS3_S6_21rocsparse_index_base_imNS_24const_host_device_scalarIfEENS8_IdEENS8_IS4_EEb.has_indirect_call, 0
	.section	.AMDGPU.csdata,"",@progbits
; Kernel info:
; codeLenInByte = 8604
; TotalNumSgprs: 61
; NumVgprs: 52
; ScratchSize: 0
; MemoryBound: 0
; FloatMode: 240
; IeeeMode: 1
; LDSByteSize: 2176 bytes/workgroup (compile time only)
; SGPRBlocks: 0
; VGPRBlocks: 3
; NumSGPRsForWavesPerEU: 61
; NumVGPRsForWavesPerEU: 52
; NamedBarCnt: 0
; Occupancy: 16
; WaveLimiterHint : 1
; COMPUTE_PGM_RSRC2:SCRATCH_EN: 0
; COMPUTE_PGM_RSRC2:USER_SGPR: 2
; COMPUTE_PGM_RSRC2:TRAP_HANDLER: 0
; COMPUTE_PGM_RSRC2:TGID_X_EN: 1
; COMPUTE_PGM_RSRC2:TGID_Y_EN: 0
; COMPUTE_PGM_RSRC2:TGID_Z_EN: 0
; COMPUTE_PGM_RSRC2:TIDIG_COMP_CNT: 1
	.section	.text._ZN9rocsparseL12bsrilu0_9_32ILj64ELj64ELj32EfEEv20rocsparse_direction_iPKiS3_PT2_S3_iPiS3_S6_21rocsparse_index_base_imNS_24const_host_device_scalarIfEENS8_IdEENS8_IS4_EEb,"axG",@progbits,_ZN9rocsparseL12bsrilu0_9_32ILj64ELj64ELj32EfEEv20rocsparse_direction_iPKiS3_PT2_S3_iPiS3_S6_21rocsparse_index_base_imNS_24const_host_device_scalarIfEENS8_IdEENS8_IS4_EEb,comdat
	.globl	_ZN9rocsparseL12bsrilu0_9_32ILj64ELj64ELj32EfEEv20rocsparse_direction_iPKiS3_PT2_S3_iPiS3_S6_21rocsparse_index_base_imNS_24const_host_device_scalarIfEENS8_IdEENS8_IS4_EEb ; -- Begin function _ZN9rocsparseL12bsrilu0_9_32ILj64ELj64ELj32EfEEv20rocsparse_direction_iPKiS3_PT2_S3_iPiS3_S6_21rocsparse_index_base_imNS_24const_host_device_scalarIfEENS8_IdEENS8_IS4_EEb
	.p2align	8
	.type	_ZN9rocsparseL12bsrilu0_9_32ILj64ELj64ELj32EfEEv20rocsparse_direction_iPKiS3_PT2_S3_iPiS3_S6_21rocsparse_index_base_imNS_24const_host_device_scalarIfEENS8_IdEENS8_IS4_EEb,@function
_ZN9rocsparseL12bsrilu0_9_32ILj64ELj64ELj32EfEEv20rocsparse_direction_iPKiS3_PT2_S3_iPiS3_S6_21rocsparse_index_base_imNS_24const_host_device_scalarIfEENS8_IdEENS8_IS4_EEb: ; @_ZN9rocsparseL12bsrilu0_9_32ILj64ELj64ELj32EfEEv20rocsparse_direction_iPKiS3_PT2_S3_iPiS3_S6_21rocsparse_index_base_imNS_24const_host_device_scalarIfEENS8_IdEENS8_IS4_EEb
; %bb.0:
	s_clause 0x2
	s_load_b32 s2, s[0:1], 0x70
	s_load_b64 s[14:15], s[0:1], 0x48
	s_load_b256 s[24:31], s[0:1], 0x50
	s_wait_kmcnt 0x0
	s_bitcmp1_b32 s2, 0
	s_cselect_b32 s2, -1, 0
	s_cmp_eq_u32 s15, 0
	s_cselect_b32 s4, -1, 0
	s_cmp_lg_u32 s15, 0
	s_cselect_b32 s38, -1, 0
	s_or_b32 s6, s4, s2
	s_delay_alu instid0(SALU_CYCLE_1)
	s_xor_b32 s5, s6, -1
	s_and_b32 s2, s4, exec_lo
	s_cselect_b32 s3, 0, s29
	s_cselect_b32 s2, 0, s28
	;; [unrolled: 1-line block ×3, first 2 shown]
	s_and_b32 vcc_lo, exec_lo, s6
	s_cbranch_vccnz .LBB4_2
; %bb.1:
	s_load_b32 s40, s[26:27], 0x0
	s_mov_b64 s[2:3], s[28:29]
.LBB4_2:
	s_delay_alu instid0(SALU_CYCLE_1)
	v_mov_b64_e32 v[2:3], s[2:3]
	v_cndmask_b32_e64 v1, 0, 1, s5
	s_and_not1_b32 vcc_lo, exec_lo, s5
	s_cbranch_vccnz .LBB4_4
; %bb.3:
	v_mov_b32_e32 v2, 0
	flat_load_b64 v[2:3], v2, s[28:29]
.LBB4_4:
	s_delay_alu instid0(VALU_DEP_1)
	v_cmp_ne_u32_e32 vcc_lo, 1, v1
	s_and_b32 s2, s4, exec_lo
	s_cselect_b32 s39, 0, s30
	s_cbranch_vccnz .LBB4_6
; %bb.5:
	s_load_b32 s39, s[30:31], 0x0
.LBB4_6:
	s_wait_xcnt 0x0
	s_load_b128 s[28:31], s[0:1], 0x30
	s_bfe_u32 s2, ttmp6, 0x4000c
	s_and_b32 s3, ttmp6, 15
	s_add_co_i32 s2, s2, 1
	s_getreg_b32 s4, hwreg(HW_REG_IB_STS2, 6, 4)
	s_mul_i32 s2, ttmp9, s2
	s_delay_alu instid0(SALU_CYCLE_1)
	s_add_co_i32 s3, s3, s2
	s_cmp_eq_u32 s4, 0
	s_cselect_b32 s2, ttmp9, s3
	s_load_b64 s[26:27], s[0:1], 0x40
	s_wait_kmcnt 0x0
	s_load_b32 s34, s[30:31], s2 offset:0x0 scale_offset
	s_load_b256 s[16:23], s[0:1], 0x8
	s_wait_kmcnt 0x0
	s_ashr_i32 s35, s34, 31
	s_delay_alu instid0(SALU_CYCLE_1) | instskip(NEXT) | instid1(SALU_CYCLE_1)
	s_lshl_b64 s[30:31], s[34:35], 2
	s_add_nc_u64 s[2:3], s[22:23], s[30:31]
	s_load_b32 s35, s[2:3], 0x0
	s_wait_kmcnt 0x0
	s_cmp_eq_u32 s35, -1
	s_cbranch_scc1 .LBB4_143
; %bb.7:
	s_add_nc_u64 s[2:3], s[16:17], s[30:31]
	s_mov_b32 s33, 0
	s_load_b64 s[4:5], s[2:3], 0x0
	s_clause 0x1
	s_load_b64 s[36:37], s[0:1], 0x0
	s_load_b32 s13, s[0:1], 0x28
	s_wait_kmcnt 0x0
	s_sub_co_i32 s41, s4, s14
	s_sub_co_i32 s15, s5, s14
	s_cmp_ge_i32 s41, s35
	s_cbranch_scc1 .LBB4_125
; %bb.8:
	v_bfe_u32 v4, v0, 10, 10
	v_and_b32_e32 v13, 0x3ff, v0
	s_cmp_lg_u32 s36, 0
	s_mov_b32 s44, s13
	s_cselect_b32 s42, -1, 0
	v_lshlrev_b32_e32 v1, 5, v4
	v_xad_u32 v5, v4, -1, s13
	v_dual_lshlrev_b32 v17, 2, v13 :: v_dual_sub_nc_u32 v20, -2, v4
	s_cmp_eq_u32 s36, 0
	s_delay_alu instid0(VALU_DEP_3) | instskip(NEXT) | instid1(VALU_DEP_3)
	v_add3_u32 v6, v1, v13, s41
	v_dual_lshrrev_b32 v1, 1, v5 :: v_dual_add_nc_u32 v16, 1, v4
	v_cmp_lt_u32_e64 s6, 1, v5
	v_add_nc_u32_e32 v21, 0x1080, v17
	s_delay_alu instid0(VALU_DEP_3) | instskip(SKIP_3) | instid1(VALU_DEP_4)
	v_dual_ashrrev_i32 v7, 31, v6 :: v_dual_add_nc_u32 v1, 1, v1
	v_add_nc_u32_e32 v19, 3, v4
	v_mad_u32_u24 v23, 0x84, v4, v17
	v_cmp_gt_i32_e64 s0, s13, v13
	v_lshl_add_u64 v[8:9], v[6:7], 2, s[18:19]
	v_mad_u32 v7, s13, s41, v13
	v_dual_add_nc_u32 v5, 2, v4 :: v_dual_bitop2_b32 v18, -2, v1 bitop3:0x40
	v_cmp_le_i32_e64 s1, s13, v13
	v_cmp_gt_i32_e64 s2, s13, v4
	v_cmp_eq_u32_e64 s4, 0, v4
	s_delay_alu instid0(VALU_DEP_4)
	v_lshl_add_u32 v22, v18, 1, v4
	v_cmp_gt_i32_e64 s5, s15, v6
	v_cmp_ne_u32_e64 s7, v1, v18
	v_mad_u32_u24 v24, 0x84, v4, v21
	v_mul_u32_u24_e32 v27, 0x84, v4
	v_mul_lo_u32 v25, s13, v7
	v_mul_lo_u32 v26, 0x84, v22
	v_dual_mov_b32 v31, 0 :: v_dual_add_nc_u32 v28, 0x1080, v23
	v_add_nc_u32_e32 v29, 0x1104, v23
	v_mad_u32_u24 v30, 0x84, v4, 0x84
	s_cselect_b32 s3, -1, 0
	s_cmp_gt_i32 s13, 0
	s_mul_i32 s45, s13, s13
	s_cselect_b32 s43, -1, 0
	s_add_co_i32 s37, s37, 1
	s_lshl_b32 s46, s13, 5
	s_branch .LBB4_11
.LBB4_9:                                ;   in Loop: Header=BB4_11 Depth=1
	s_mov_b32 s33, -1
.LBB4_10:                               ;   in Loop: Header=BB4_11 Depth=1
	s_add_co_i32 s41, s41, 1
	v_add_nc_u32_e32 v25, s45, v25
	s_cmp_lt_i32 s41, s35
	s_cselect_b32 s9, -1, 0
	s_delay_alu instid0(SALU_CYCLE_1) | instskip(NEXT) | instid1(SALU_CYCLE_1)
	s_and_b32 s8, s8, s9
	s_and_b32 vcc_lo, exec_lo, s8
	s_cbranch_vccz .LBB4_125
.LBB4_11:                               ; =>This Loop Header: Depth=1
                                        ;     Child Loop BB4_14 Depth 2
                                        ;       Child Loop BB4_17 Depth 3
                                        ;       Child Loop BB4_24 Depth 3
                                        ;     Child Loop BB4_30 Depth 2
                                        ;     Child Loop BB4_34 Depth 2
                                        ;       Child Loop BB4_37 Depth 3
                                        ;       Child Loop BB4_44 Depth 3
                                        ;     Child Loop BB4_51 Depth 2
                                        ;       Child Loop BB4_54 Depth 3
                                        ;         Child Loop BB4_59 Depth 4
                                        ;         Child Loop BB4_63 Depth 4
                                        ;     Child Loop BB4_67 Depth 2
                                        ;       Child Loop BB4_70 Depth 3
                                        ;       Child Loop BB4_77 Depth 3
                                        ;     Child Loop BB4_86 Depth 2
                                        ;       Child Loop BB4_91 Depth 3
                                        ;       Child Loop BB4_100 Depth 3
                                        ;         Child Loop BB4_103 Depth 4
                                        ;         Child Loop BB4_110 Depth 4
                                        ;       Child Loop BB4_116 Depth 3
                                        ;         Child Loop BB4_119 Depth 4
                                        ;           Child Loop BB4_120 Depth 5
	s_wait_xcnt 0x0
	v_mov_b32_e32 v1, s41
	global_load_b32 v1, v1, s[18:19] scale_offset
	s_wait_loadcnt 0x0
	v_readfirstlane_b32 s8, v1
	s_wait_xcnt 0x0
	s_and_saveexec_b32 s9, s0
	s_cbranch_execz .LBB4_28
; %bb.12:                               ;   in Loop: Header=BB4_11 Depth=1
	v_dual_mov_b32 v11, v21 :: v_dual_mov_b32 v32, v25
	v_dual_mov_b32 v33, v28 :: v_dual_mov_b32 v10, v13
	s_mul_i32 s10, s41, s13
	s_mov_b32 s12, 0
	s_mov_b32 s11, s10
	s_branch .LBB4_14
.LBB4_13:                               ;   in Loop: Header=BB4_14 Depth=2
	s_or_b32 exec_lo, exec_lo, s47
	v_dual_add_nc_u32 v10, 32, v10 :: v_dual_add_nc_u32 v32, s46, v32
	v_add_nc_u32_e32 v33, 0x80, v33
	v_add_nc_u32_e32 v11, 0x80, v11
	s_delay_alu instid0(VALU_DEP_3) | instskip(SKIP_1) | instid1(SALU_CYCLE_1)
	v_cmp_le_i32_e32 vcc_lo, s13, v10
	s_or_b32 s12, vcc_lo, s12
	s_and_not1_b32 exec_lo, exec_lo, s12
	s_cbranch_execz .LBB4_28
.LBB4_14:                               ;   Parent Loop BB4_11 Depth=1
                                        ; =>  This Loop Header: Depth=2
                                        ;       Child Loop BB4_17 Depth 3
                                        ;       Child Loop BB4_24 Depth 3
	s_and_saveexec_b32 s47, s2
	s_cbranch_execz .LBB4_13
; %bb.15:                               ;   in Loop: Header=BB4_14 Depth=2
	v_dual_mov_b32 v1, v4 :: v_dual_mov_b32 v7, v27
	s_mov_b32 s49, -1
	s_and_saveexec_b32 s48, s6
	s_cbranch_execz .LBB4_21
; %bb.16:                               ;   in Loop: Header=BB4_14 Depth=2
	v_dual_mov_b32 v34, v18 :: v_dual_add_nc_u32 v1, s10, v10
	v_mov_b64_e32 v[14:15], v[4:5]
	s_mov_b32 s49, 0
	v_mov_b32_e32 v35, v33
	s_delay_alu instid0(VALU_DEP_3) | instskip(NEXT) | instid1(VALU_DEP_1)
	v_mul_lo_u32 v12, v1, s13
	v_dual_mov_b32 v1, v10 :: v_dual_mov_b32 v7, v12
.LBB4_17:                               ;   Parent Loop BB4_11 Depth=1
                                        ;     Parent Loop BB4_14 Depth=2
                                        ; =>    This Inner Loop Header: Depth=3
	s_delay_alu instid0(VALU_DEP_4) | instskip(NEXT) | instid1(VALU_DEP_2)
	v_dual_add_nc_u32 v36, s10, v14 :: v_dual_add_nc_u32 v37, s11, v15
	v_dual_add_nc_u32 v38, v14, v12 :: v_dual_add_nc_u32 v39, v15, v7
	v_dual_add_nc_u32 v34, -2, v34 :: v_dual_add_nc_u32 v15, 4, v15
	s_delay_alu instid0(VALU_DEP_3) | instskip(NEXT) | instid1(VALU_DEP_4)
	v_mad_u32 v36, v36, s13, v10
	v_mad_u32 v37, v37, s44, v1
	v_add_nc_u32_e32 v14, 4, v14
	s_delay_alu instid0(VALU_DEP_4) | instskip(SKIP_1) | instid1(VALU_DEP_3)
	v_cmp_eq_u32_e32 vcc_lo, 0, v34
	s_or_b32 s49, vcc_lo, s49
	v_dual_cndmask_b32 v36, v36, v38, s3 :: v_dual_cndmask_b32 v37, v37, v39, s3
	s_clause 0x1
	global_load_b32 v38, v36, s[20:21] scale_offset
	global_load_b32 v39, v37, s[20:21] scale_offset
	s_wait_loadcnt 0x0
	ds_store_2addr_b32 v35, v38, v39 offset1:66
	v_add_nc_u32_e32 v35, 0x210, v35
	s_wait_xcnt 0x0
	s_and_not1_b32 exec_lo, exec_lo, s49
	s_cbranch_execnz .LBB4_17
; %bb.18:                               ;   in Loop: Header=BB4_14 Depth=2
	s_or_b32 exec_lo, exec_lo, s49
	s_mov_b32 s49, 0
	s_and_saveexec_b32 s50, s7
; %bb.19:                               ;   in Loop: Header=BB4_14 Depth=2
	s_mov_b32 s49, exec_lo
; %bb.20:                               ;   in Loop: Header=BB4_14 Depth=2
	s_or_b32 exec_lo, exec_lo, s50
	v_dual_mov_b32 v1, v22 :: v_dual_mov_b32 v7, v26
	s_or_not1_b32 s49, s49, exec_lo
.LBB4_21:                               ;   in Loop: Header=BB4_14 Depth=2
	s_or_b32 exec_lo, exec_lo, s48
	s_delay_alu instid0(SALU_CYCLE_1)
	s_and_b32 exec_lo, exec_lo, s49
	s_cbranch_execz .LBB4_13
; %bb.22:                               ;   in Loop: Header=BB4_14 Depth=2
	v_add_nc_u32_e32 v7, v11, v7
	s_mov_b32 s48, 0
	s_branch .LBB4_24
.LBB4_23:                               ;   in Loop: Header=BB4_24 Depth=3
	global_load_b32 v12, v12, s[20:21] scale_offset
	v_add_nc_u32_e32 v1, 2, v1
	s_delay_alu instid0(VALU_DEP_1)
	v_cmp_le_i32_e32 vcc_lo, s13, v1
	s_or_b32 s48, vcc_lo, s48
	s_wait_loadcnt 0x0
	ds_store_b32 v7, v12
	v_add_nc_u32_e32 v7, 0x108, v7
	s_wait_xcnt 0x0
	s_and_not1_b32 exec_lo, exec_lo, s48
	s_cbranch_execz .LBB4_13
.LBB4_24:                               ;   Parent Loop BB4_11 Depth=1
                                        ;     Parent Loop BB4_14 Depth=2
                                        ; =>    This Inner Loop Header: Depth=3
	s_and_b32 vcc_lo, exec_lo, s42
	s_mov_b32 s49, -1
                                        ; implicit-def: $vgpr12
	s_cbranch_vccz .LBB4_26
; %bb.25:                               ;   in Loop: Header=BB4_24 Depth=3
	v_add_nc_u32_e32 v12, s10, v1
	s_mov_b32 s49, 0
	s_delay_alu instid0(VALU_DEP_1)
	v_mad_u32 v12, v12, s13, v10
.LBB4_26:                               ;   in Loop: Header=BB4_24 Depth=3
	s_and_not1_b32 vcc_lo, exec_lo, s49
	s_cbranch_vccnz .LBB4_23
; %bb.27:                               ;   in Loop: Header=BB4_24 Depth=3
	v_add_nc_u32_e32 v12, v32, v1
	s_branch .LBB4_23
.LBB4_28:                               ;   in Loop: Header=BB4_11 Depth=1
	s_or_b32 exec_lo, exec_lo, s9
	s_sub_co_i32 s10, s8, s14
	s_delay_alu instid0(SALU_CYCLE_1)
	v_mov_b32_e32 v1, s10
	global_load_b32 v1, v1, s[22:23] scale_offset
	s_wait_loadcnt 0x0
	v_cmp_eq_u32_e32 vcc_lo, -1, v1
	v_readfirstlane_b32 s47, v1
	v_cmp_ne_u32_e64 s8, -1, v1
	s_cbranch_vccnz .LBB4_9
; %bb.29:                               ;   in Loop: Header=BB4_11 Depth=1
	s_ashr_i32 s11, s10, 31
	s_delay_alu instid0(SALU_CYCLE_1) | instskip(NEXT) | instid1(SALU_CYCLE_1)
	s_lshl_b64 s[10:11], s[10:11], 2
	s_add_nc_u64 s[48:49], s[16:17], s[10:11]
	s_add_nc_u64 s[10:11], s[28:29], s[10:11]
	global_load_b32 v1, v31, s[48:49] offset:4
	s_wait_loadcnt 0x0
	s_wait_xcnt 0x0
	v_readfirstlane_b32 s48, v1
.LBB4_30:                               ;   Parent Loop BB4_11 Depth=1
                                        ; =>  This Inner Loop Header: Depth=2
	global_load_b32 v1, v31, s[10:11] scope:SCOPE_DEV
	s_wait_loadcnt 0x0
	v_cmp_eq_u32_e32 vcc_lo, 0, v1
	s_cbranch_vccnz .LBB4_30
; %bb.31:                               ;   in Loop: Header=BB4_11 Depth=1
	s_wait_dscnt 0x0
	global_inv scope:SCOPE_DEV
	s_wait_xcnt 0x0
	s_and_saveexec_b32 s9, s0
	s_cbranch_execz .LBB4_48
; %bb.32:                               ;   in Loop: Header=BB4_11 Depth=1
	s_mul_i32 s10, s47, s13
	v_dual_mov_b32 v33, v23 :: v_dual_mov_b32 v10, v13
	v_dual_mov_b32 v32, v17 :: v_dual_add_nc_u32 v1, s10, v13
	s_mov_b32 s11, s10
	s_mov_b32 s12, 0
	s_delay_alu instid0(VALU_DEP_1)
	v_mul_lo_u32 v11, s13, v1
	s_branch .LBB4_34
.LBB4_33:                               ;   in Loop: Header=BB4_34 Depth=2
	s_or_b32 exec_lo, exec_lo, s49
	s_delay_alu instid0(VALU_DEP_1) | instskip(SKIP_2) | instid1(VALU_DEP_3)
	v_dual_add_nc_u32 v10, 32, v10 :: v_dual_add_nc_u32 v11, s46, v11
	v_add_nc_u32_e32 v33, 0x80, v33
	v_add_nc_u32_e32 v32, 0x80, v32
	v_cmp_le_i32_e32 vcc_lo, s13, v10
	s_or_b32 s12, vcc_lo, s12
	s_delay_alu instid0(SALU_CYCLE_1)
	s_and_not1_b32 exec_lo, exec_lo, s12
	s_cbranch_execz .LBB4_48
.LBB4_34:                               ;   Parent Loop BB4_11 Depth=1
                                        ; =>  This Loop Header: Depth=2
                                        ;       Child Loop BB4_37 Depth 3
                                        ;       Child Loop BB4_44 Depth 3
	s_and_saveexec_b32 s49, s2
	s_cbranch_execz .LBB4_33
; %bb.35:                               ;   in Loop: Header=BB4_34 Depth=2
	v_dual_mov_b32 v1, v4 :: v_dual_mov_b32 v7, v27
	s_mov_b32 s51, -1
	s_and_saveexec_b32 s50, s6
	s_cbranch_execz .LBB4_41
; %bb.36:                               ;   in Loop: Header=BB4_34 Depth=2
	v_dual_mov_b32 v34, v18 :: v_dual_add_nc_u32 v1, s10, v10
	v_mov_b64_e32 v[14:15], v[4:5]
	s_mov_b32 s51, 0
	v_mov_b32_e32 v35, v33
	s_delay_alu instid0(VALU_DEP_3) | instskip(NEXT) | instid1(VALU_DEP_1)
	v_mul_lo_u32 v12, v1, s13
	v_dual_mov_b32 v1, v10 :: v_dual_mov_b32 v7, v12
.LBB4_37:                               ;   Parent Loop BB4_11 Depth=1
                                        ;     Parent Loop BB4_34 Depth=2
                                        ; =>    This Inner Loop Header: Depth=3
	s_delay_alu instid0(VALU_DEP_4) | instskip(NEXT) | instid1(VALU_DEP_2)
	v_dual_add_nc_u32 v36, s10, v14 :: v_dual_add_nc_u32 v37, s11, v15
	v_dual_add_nc_u32 v38, v14, v12 :: v_dual_add_nc_u32 v39, v15, v7
	v_dual_add_nc_u32 v34, -2, v34 :: v_dual_add_nc_u32 v15, 4, v15
	s_delay_alu instid0(VALU_DEP_3) | instskip(NEXT) | instid1(VALU_DEP_4)
	v_mad_u32 v36, v36, s13, v10
	v_mad_u32 v37, v37, s44, v1
	v_add_nc_u32_e32 v14, 4, v14
	s_delay_alu instid0(VALU_DEP_4) | instskip(SKIP_1) | instid1(VALU_DEP_3)
	v_cmp_eq_u32_e32 vcc_lo, 0, v34
	s_or_b32 s51, vcc_lo, s51
	v_dual_cndmask_b32 v36, v36, v38, s3 :: v_dual_cndmask_b32 v37, v37, v39, s3
	s_clause 0x1
	global_load_b32 v38, v36, s[20:21] scale_offset
	global_load_b32 v39, v37, s[20:21] scale_offset
	s_wait_loadcnt 0x0
	ds_store_2addr_b32 v35, v38, v39 offset1:66
	v_add_nc_u32_e32 v35, 0x210, v35
	s_wait_xcnt 0x0
	s_and_not1_b32 exec_lo, exec_lo, s51
	s_cbranch_execnz .LBB4_37
; %bb.38:                               ;   in Loop: Header=BB4_34 Depth=2
	s_or_b32 exec_lo, exec_lo, s51
	s_mov_b32 s51, 0
	s_and_saveexec_b32 s52, s7
; %bb.39:                               ;   in Loop: Header=BB4_34 Depth=2
	s_mov_b32 s51, exec_lo
; %bb.40:                               ;   in Loop: Header=BB4_34 Depth=2
	s_or_b32 exec_lo, exec_lo, s52
	v_dual_mov_b32 v1, v22 :: v_dual_mov_b32 v7, v26
	s_or_not1_b32 s51, s51, exec_lo
.LBB4_41:                               ;   in Loop: Header=BB4_34 Depth=2
	s_or_b32 exec_lo, exec_lo, s50
	s_delay_alu instid0(SALU_CYCLE_1)
	s_and_b32 exec_lo, exec_lo, s51
	s_cbranch_execz .LBB4_33
; %bb.42:                               ;   in Loop: Header=BB4_34 Depth=2
	v_add_nc_u32_e32 v7, v32, v7
	s_mov_b32 s50, 0
	s_branch .LBB4_44
.LBB4_43:                               ;   in Loop: Header=BB4_44 Depth=3
	global_load_b32 v12, v12, s[20:21] scale_offset
	v_add_nc_u32_e32 v1, 2, v1
	s_delay_alu instid0(VALU_DEP_1)
	v_cmp_le_i32_e32 vcc_lo, s13, v1
	s_or_b32 s50, vcc_lo, s50
	s_wait_loadcnt 0x0
	ds_store_b32 v7, v12
	v_add_nc_u32_e32 v7, 0x108, v7
	s_wait_xcnt 0x0
	s_and_not1_b32 exec_lo, exec_lo, s50
	s_cbranch_execz .LBB4_33
.LBB4_44:                               ;   Parent Loop BB4_11 Depth=1
                                        ;     Parent Loop BB4_34 Depth=2
                                        ; =>    This Inner Loop Header: Depth=3
	s_and_b32 vcc_lo, exec_lo, s42
	s_mov_b32 s51, -1
                                        ; implicit-def: $vgpr12
	s_cbranch_vccz .LBB4_46
; %bb.45:                               ;   in Loop: Header=BB4_44 Depth=3
	v_add_nc_u32_e32 v12, s10, v1
	s_mov_b32 s51, 0
	s_delay_alu instid0(VALU_DEP_1)
	v_mad_u32 v12, v12, s13, v10
.LBB4_46:                               ;   in Loop: Header=BB4_44 Depth=3
	s_and_not1_b32 vcc_lo, exec_lo, s51
	s_cbranch_vccnz .LBB4_43
; %bb.47:                               ;   in Loop: Header=BB4_44 Depth=3
	v_add_nc_u32_e32 v12, v11, v1
	s_branch .LBB4_43
.LBB4_48:                               ;   in Loop: Header=BB4_11 Depth=1
	s_or_b32 exec_lo, exec_lo, s9
	s_delay_alu instid0(SALU_CYCLE_1)
	s_and_not1_b32 vcc_lo, exec_lo, s43
	s_wait_loadcnt_dscnt 0x0
	s_cbranch_vccnz .LBB4_64
; %bb.49:                               ;   in Loop: Header=BB4_11 Depth=1
	v_dual_mov_b32 v1, v20 :: v_dual_mov_b32 v7, v19
	v_dual_mov_b32 v12, v30 :: v_dual_mov_b32 v14, v29
	s_mov_b32 s49, 0
	s_mov_b32 s50, 0
	s_branch .LBB4_51
.LBB4_50:                               ;   in Loop: Header=BB4_51 Depth=2
	s_or_b32 exec_lo, exec_lo, s51
	v_add_nc_u32_e32 v14, 0x84, v14
	v_add_nc_u32_e32 v12, 0x88, v12
	v_dual_add_nc_u32 v7, 1, v7 :: v_dual_add_nc_u32 v1, -1, v1
	s_add_co_i32 s50, s50, 1
	s_add_co_i32 s49, s49, 4
	s_cmp_eq_u32 s50, s13
	s_wait_dscnt 0x0
	s_cbranch_scc1 .LBB4_64
.LBB4_51:                               ;   Parent Loop BB4_11 Depth=1
                                        ; =>  This Loop Header: Depth=2
                                        ;       Child Loop BB4_54 Depth 3
                                        ;         Child Loop BB4_59 Depth 4
                                        ;         Child Loop BB4_63 Depth 4
	s_and_saveexec_b32 s51, s0
	s_cbranch_execz .LBB4_50
; %bb.52:                               ;   in Loop: Header=BB4_51 Depth=2
	v_add_max_i32_e64 v10, v19, s50, s13
	v_subrev_nc_u32_e32 v11, s50, v20
	s_mul_i32 s52, s50, 0x84
	s_lshl_b32 s9, s50, 2
	s_mov_b32 s53, 0
	s_add_co_i32 s9, s52, s9
	v_max_i32_e32 v15, s13, v7
	v_dual_mov_b32 v11, s9 :: v_dual_add_nc_u32 v10, v10, v11
	s_mov_b32 s54, 0
	s_delay_alu instid0(VALU_DEP_1)
	v_dual_add_nc_u32 v34, v15, v1 :: v_dual_lshrrev_b32 v36, 1, v10
	v_add_nc_u32_e32 v15, s50, v16
	ds_load_b32 v33, v11
	v_dual_mov_b32 v32, v21 :: v_dual_lshrrev_b32 v11, 1, v34
	v_mul_hi_u32 v40, 0x108, v36
	v_dual_mov_b32 v34, v14 :: v_dual_add_nc_u32 v39, 1, v36
	v_mul_lo_u32 v36, 0x108, v36
	s_delay_alu instid0(VALU_DEP_4) | instskip(NEXT) | instid1(VALU_DEP_3)
	v_dual_add_nc_u32 v35, s52, v24 :: v_dual_add_nc_u32 v11, 1, v11
	v_and_b32_e32 v41, -4, v39
	v_cmp_gt_i32_e64 s9, s13, v15
	v_cmp_gt_u32_e64 s10, 38, v10
	s_addk_co_i32 s52, 0x1080
	v_and_b32_e32 v37, -4, v11
	v_cmp_ne_u32_e64 s11, v39, v41
	v_cmp_ne_u32_e64 s12, 0, v40
	v_mov_b32_e32 v39, v13
	v_lshl_add_u32 v38, v41, 1, v15
	s_branch .LBB4_54
.LBB4_53:                               ;   in Loop: Header=BB4_54 Depth=3
	s_or_b32 exec_lo, exec_lo, s55
	v_add_nc_u32_e32 v39, 32, v39
	v_add_nc_u32_e32 v34, 0x80, v34
	;; [unrolled: 1-line block ×3, first 2 shown]
	s_add_co_i32 s54, s54, 1
	s_delay_alu instid0(VALU_DEP_3) | instskip(SKIP_1) | instid1(SALU_CYCLE_1)
	v_cmp_le_i32_e32 vcc_lo, s13, v39
	s_or_b32 s53, vcc_lo, s53
	s_and_not1_b32 exec_lo, exec_lo, s53
	s_cbranch_execz .LBB4_50
.LBB4_54:                               ;   Parent Loop BB4_11 Depth=1
                                        ;     Parent Loop BB4_51 Depth=2
                                        ; =>    This Loop Header: Depth=3
                                        ;         Child Loop BB4_59 Depth 4
                                        ;         Child Loop BB4_63 Depth 4
	s_delay_alu instid0(VALU_DEP_2) | instskip(SKIP_3) | instid1(VALU_DEP_1)
	v_lshl_add_u32 v10, v39, 2, s52
	ds_load_b32 v11, v10
	s_wait_dscnt 0x0
	v_div_scale_f32 v40, null, v33, v33, v11
	v_rcp_f32_e32 v41, v40
	v_nop
	s_delay_alu instid0(TRANS32_DEP_1) | instskip(NEXT) | instid1(VALU_DEP_1)
	v_fma_f32 v42, -v40, v41, 1.0
	v_fmac_f32_e32 v41, v42, v41
	v_div_scale_f32 v42, vcc_lo, v11, v33, v11
	s_delay_alu instid0(VALU_DEP_1) | instskip(NEXT) | instid1(VALU_DEP_1)
	v_mul_f32_e32 v43, v42, v41
	v_fma_f32 v44, -v40, v43, v42
	s_delay_alu instid0(VALU_DEP_1) | instskip(NEXT) | instid1(VALU_DEP_1)
	v_fmac_f32_e32 v43, v44, v41
	v_fma_f32 v40, -v40, v43, v42
	s_delay_alu instid0(VALU_DEP_1) | instskip(NEXT) | instid1(VALU_DEP_1)
	v_div_fmas_f32 v40, v40, v41, v43
	v_div_fixup_f32 v40, v40, v33, v11
	s_and_saveexec_b32 s55, s4
; %bb.55:                               ;   in Loop: Header=BB4_54 Depth=3
	ds_store_b32 v10, v40
; %bb.56:                               ;   in Loop: Header=BB4_54 Depth=3
	s_or_b32 exec_lo, exec_lo, s55
	s_and_saveexec_b32 s55, s9
	s_cbranch_execz .LBB4_53
; %bb.57:                               ;   in Loop: Header=BB4_54 Depth=3
	s_lshl_b32 s56, s54, 7
	s_mov_b32 s57, -1
	v_add3_u32 v10, v35, s56, 0x84
	s_delay_alu instid0(VALU_DEP_1) | instskip(NEXT) | instid1(VALU_DEP_1)
	v_add_nc_u32_e32 v11, v10, v36
	v_cmp_lt_u32_e32 vcc_lo, v11, v10
	v_mov_b32_e32 v10, v15
	s_or_b32 s56, vcc_lo, s12
	s_delay_alu instid0(SALU_CYCLE_1) | instskip(NEXT) | instid1(SALU_CYCLE_1)
	s_nor_b32 s58, s10, s56
	s_and_saveexec_b32 s56, s58
	s_cbranch_execz .LBB4_61
; %bb.58:                               ;   in Loop: Header=BB4_54 Depth=3
	v_xor_b32_e32 v10, 0x80000000, v40
	v_dual_mov_b32 v41, v37 :: v_dual_mov_b32 v42, v12
	s_mov_b32 s57, 0
	s_delay_alu instid0(VALU_DEP_2)
	v_dual_mov_b32 v43, v34 :: v_dual_mov_b32 v11, v10
.LBB4_59:                               ;   Parent Loop BB4_11 Depth=1
                                        ;     Parent Loop BB4_51 Depth=2
                                        ;       Parent Loop BB4_54 Depth=3
                                        ; =>      This Inner Loop Header: Depth=4
	ds_load_2addr_b32 v[44:45], v42 offset1:66
	ds_load_2addr_b32 v[46:47], v42 offset0:132 offset1:198
	ds_load_2addr_b32 v[48:49], v43 offset1:66
	ds_load_2addr_b32 v[50:51], v43 offset0:132 offset1:198
	v_add_nc_u32_e32 v41, -4, v41
	v_add_nc_u32_e32 v42, 0x420, v42
	s_delay_alu instid0(VALU_DEP_2)
	v_cmp_eq_u32_e32 vcc_lo, 0, v41
	s_or_b32 s57, vcc_lo, s57
	s_wait_dscnt 0x1
	v_pk_fma_f32 v[44:45], v[10:11], v[44:45], v[48:49]
	s_wait_dscnt 0x0
	v_pk_fma_f32 v[46:47], v[10:11], v[46:47], v[50:51]
	ds_store_2addr_b32 v43, v44, v45 offset1:66
	ds_store_2addr_b32 v43, v46, v47 offset0:132 offset1:198
	v_add_nc_u32_e32 v43, 0x420, v43
	s_and_not1_b32 exec_lo, exec_lo, s57
	s_cbranch_execnz .LBB4_59
; %bb.60:                               ;   in Loop: Header=BB4_54 Depth=3
	s_or_b32 exec_lo, exec_lo, s57
	v_mov_b32_e32 v10, v38
	s_or_not1_b32 s57, s11, exec_lo
.LBB4_61:                               ;   in Loop: Header=BB4_54 Depth=3
	s_or_b32 exec_lo, exec_lo, s56
	s_delay_alu instid0(SALU_CYCLE_1)
	s_and_b32 exec_lo, exec_lo, s57
	s_cbranch_execz .LBB4_53
; %bb.62:                               ;   in Loop: Header=BB4_54 Depth=3
	v_mul_lo_u32 v41, 0x84, v10
	s_mov_b32 s56, 0
	s_delay_alu instid0(VALU_DEP_1)
	v_dual_add_nc_u32 v11, v32, v41 :: v_dual_add_nc_u32 v41, s49, v41
.LBB4_63:                               ;   Parent Loop BB4_11 Depth=1
                                        ;     Parent Loop BB4_51 Depth=2
                                        ;       Parent Loop BB4_54 Depth=3
                                        ; =>      This Inner Loop Header: Depth=4
	ds_load_b32 v42, v41
	ds_load_b32 v43, v11
	v_add_nc_u32_e32 v10, 2, v10
	v_add_nc_u32_e32 v41, 0x108, v41
	s_delay_alu instid0(VALU_DEP_2)
	v_cmp_le_i32_e32 vcc_lo, s13, v10
	s_or_b32 s56, vcc_lo, s56
	s_wait_dscnt 0x0
	v_fma_f32 v42, -v40, v42, v43
	ds_store_b32 v11, v42
	v_add_nc_u32_e32 v11, 0x108, v11
	s_and_not1_b32 exec_lo, exec_lo, s56
	s_cbranch_execnz .LBB4_63
	s_branch .LBB4_53
.LBB4_64:                               ;   in Loop: Header=BB4_11 Depth=1
	s_and_saveexec_b32 s9, s0
	s_cbranch_execz .LBB4_81
; %bb.65:                               ;   in Loop: Header=BB4_11 Depth=1
	v_dual_mov_b32 v11, v21 :: v_dual_mov_b32 v32, v25
	v_dual_mov_b32 v33, v28 :: v_dual_mov_b32 v10, v13
	s_mul_i32 s10, s41, s13
	s_mov_b32 s12, 0
	s_mov_b32 s11, s10
	s_branch .LBB4_67
.LBB4_66:                               ;   in Loop: Header=BB4_67 Depth=2
	s_or_b32 exec_lo, exec_lo, s49
	v_dual_add_nc_u32 v10, 32, v10 :: v_dual_add_nc_u32 v32, s46, v32
	v_add_nc_u32_e32 v33, 0x80, v33
	v_add_nc_u32_e32 v11, 0x80, v11
	s_delay_alu instid0(VALU_DEP_3) | instskip(SKIP_1) | instid1(SALU_CYCLE_1)
	v_cmp_le_i32_e32 vcc_lo, s13, v10
	s_or_b32 s12, vcc_lo, s12
	s_and_not1_b32 exec_lo, exec_lo, s12
	s_cbranch_execz .LBB4_81
.LBB4_67:                               ;   Parent Loop BB4_11 Depth=1
                                        ; =>  This Loop Header: Depth=2
                                        ;       Child Loop BB4_70 Depth 3
                                        ;       Child Loop BB4_77 Depth 3
	s_and_saveexec_b32 s49, s2
	s_cbranch_execz .LBB4_66
; %bb.68:                               ;   in Loop: Header=BB4_67 Depth=2
	v_dual_mov_b32 v1, v4 :: v_dual_mov_b32 v7, v27
	s_mov_b32 s51, -1
	s_and_saveexec_b32 s50, s6
	s_cbranch_execz .LBB4_74
; %bb.69:                               ;   in Loop: Header=BB4_67 Depth=2
	v_dual_mov_b32 v34, v18 :: v_dual_add_nc_u32 v1, s10, v10
	v_mov_b64_e32 v[14:15], v[4:5]
	s_mov_b32 s51, 0
	v_mov_b32_e32 v35, v33
	s_delay_alu instid0(VALU_DEP_3) | instskip(NEXT) | instid1(VALU_DEP_1)
	v_mul_lo_u32 v12, v1, s13
	v_dual_mov_b32 v1, v10 :: v_dual_mov_b32 v7, v12
.LBB4_70:                               ;   Parent Loop BB4_11 Depth=1
                                        ;     Parent Loop BB4_67 Depth=2
                                        ; =>    This Inner Loop Header: Depth=3
	s_delay_alu instid0(VALU_DEP_4)
	v_dual_add_nc_u32 v38, s11, v15 :: v_dual_add_nc_u32 v39, s10, v14
	ds_load_2addr_b32 v[36:37], v35 offset1:66
	v_dual_add_nc_u32 v34, -2, v34 :: v_dual_add_nc_u32 v40, v14, v12
	v_mad_u32 v38, v38, s44, v1
	v_mad_u32 v39, v39, s13, v10
	v_dual_add_nc_u32 v41, v15, v7 :: v_dual_add_nc_u32 v14, 4, v14
	s_delay_alu instid0(VALU_DEP_4)
	v_cmp_eq_u32_e32 vcc_lo, 0, v34
	v_add_nc_u32_e32 v15, 4, v15
	v_add_nc_u32_e32 v35, 0x210, v35
	s_or_b32 s51, vcc_lo, s51
	v_dual_cndmask_b32 v38, v38, v41, s3 :: v_dual_cndmask_b32 v39, v39, v40, s3
	s_wait_dscnt 0x0
	s_clause 0x1
	global_store_b32 v39, v36, s[20:21] scale_offset
	global_store_b32 v38, v37, s[20:21] scale_offset
	s_wait_xcnt 0x0
	s_and_not1_b32 exec_lo, exec_lo, s51
	s_cbranch_execnz .LBB4_70
; %bb.71:                               ;   in Loop: Header=BB4_67 Depth=2
	s_or_b32 exec_lo, exec_lo, s51
	s_mov_b32 s51, 0
                                        ; implicit-def: $vgpr7
	s_and_saveexec_b32 s52, s7
; %bb.72:                               ;   in Loop: Header=BB4_67 Depth=2
	v_mul_lo_u32 v7, 0x84, v22
	s_mov_b32 s51, exec_lo
; %bb.73:                               ;   in Loop: Header=BB4_67 Depth=2
	s_or_b32 exec_lo, exec_lo, s52
	v_mov_b32_e32 v1, v22
	s_or_not1_b32 s51, s51, exec_lo
.LBB4_74:                               ;   in Loop: Header=BB4_67 Depth=2
	s_or_b32 exec_lo, exec_lo, s50
	s_delay_alu instid0(SALU_CYCLE_1)
	s_and_b32 exec_lo, exec_lo, s51
	s_cbranch_execz .LBB4_66
; %bb.75:                               ;   in Loop: Header=BB4_67 Depth=2
	s_delay_alu instid0(VALU_DEP_1)
	v_add_nc_u32_e32 v7, v11, v7
	s_mov_b32 s50, 0
	s_branch .LBB4_77
.LBB4_76:                               ;   in Loop: Header=BB4_77 Depth=3
	v_add_nc_u32_e32 v1, 2, v1
	v_add_nc_u32_e32 v7, 0x108, v7
	s_wait_dscnt 0x0
	global_store_b32 v14, v12, s[20:21] scale_offset
	v_cmp_le_i32_e32 vcc_lo, s13, v1
	s_or_b32 s50, vcc_lo, s50
	s_wait_xcnt 0x0
	s_and_not1_b32 exec_lo, exec_lo, s50
	s_cbranch_execz .LBB4_66
.LBB4_77:                               ;   Parent Loop BB4_11 Depth=1
                                        ;     Parent Loop BB4_67 Depth=2
                                        ; =>    This Inner Loop Header: Depth=3
	ds_load_b32 v12, v7
	s_and_b32 vcc_lo, exec_lo, s42
	s_mov_b32 s51, -1
                                        ; implicit-def: $vgpr14
	s_cbranch_vccz .LBB4_79
; %bb.78:                               ;   in Loop: Header=BB4_77 Depth=3
	v_add_nc_u32_e32 v14, s10, v1
	s_mov_b32 s51, 0
	s_delay_alu instid0(VALU_DEP_1)
	v_mad_u32 v14, v14, s13, v10
.LBB4_79:                               ;   in Loop: Header=BB4_77 Depth=3
	s_and_not1_b32 vcc_lo, exec_lo, s51
	s_cbranch_vccnz .LBB4_76
; %bb.80:                               ;   in Loop: Header=BB4_77 Depth=3
	v_add_nc_u32_e32 v14, v32, v1
	s_branch .LBB4_76
.LBB4_81:                               ;   in Loop: Header=BB4_11 Depth=1
	s_or_b32 exec_lo, exec_lo, s9
	s_sub_co_i32 s9, s48, s14
	s_add_co_i32 s10, s47, 1
	s_delay_alu instid0(SALU_CYCLE_1)
	s_cmp_ge_i32 s10, s9
	s_cbranch_scc1 .LBB4_10
; %bb.82:                               ;   in Loop: Header=BB4_11 Depth=1
	v_mad_u32 v1, s13, s10, v13
	s_delay_alu instid0(VALU_DEP_1)
	v_mul_lo_u32 v11, s13, v1
	s_branch .LBB4_86
.LBB4_83:                               ;   in Loop: Header=BB4_86 Depth=2
	s_or_b32 exec_lo, exec_lo, s12
.LBB4_84:                               ;   in Loop: Header=BB4_86 Depth=2
	s_delay_alu instid0(SALU_CYCLE_1)
	s_or_b32 exec_lo, exec_lo, s11
.LBB4_85:                               ;   in Loop: Header=BB4_86 Depth=2
	v_add_nc_u32_e32 v11, s45, v11
	s_add_co_i32 s10, s10, 1
	s_wait_storecnt_dscnt 0x0
	s_cmp_lt_i32 s10, s9
	s_cbranch_scc0 .LBB4_10
.LBB4_86:                               ;   Parent Loop BB4_11 Depth=1
                                        ; =>  This Loop Header: Depth=2
                                        ;       Child Loop BB4_91 Depth 3
                                        ;       Child Loop BB4_100 Depth 3
                                        ;         Child Loop BB4_103 Depth 4
                                        ;         Child Loop BB4_110 Depth 4
                                        ;       Child Loop BB4_116 Depth 3
                                        ;         Child Loop BB4_119 Depth 4
                                        ;           Child Loop BB4_120 Depth 5
	v_dual_mov_b32 v1, s10 :: v_dual_mov_b32 v7, s37
	global_load_b32 v1, v1, s[18:19] scale_offset
	s_wait_xcnt 0x0
	s_and_saveexec_b32 s11, s5
	s_cbranch_execz .LBB4_88
; %bb.87:                               ;   in Loop: Header=BB4_86 Depth=2
	global_load_b32 v7, v[8:9], off
	s_wait_loadcnt 0x0
	v_subrev_nc_u32_e32 v7, s14, v7
.LBB4_88:                               ;   in Loop: Header=BB4_86 Depth=2
	s_wait_xcnt 0x0
	s_or_b32 exec_lo, exec_lo, s11
	s_wait_loadcnt 0x0
	v_subrev_nc_u32_e32 v1, s14, v1
	v_mov_b32_e32 v10, v6
	s_mov_b32 s11, exec_lo
	s_delay_alu instid0(VALU_DEP_2)
	v_cmpx_lt_i32_e64 v7, v1
	s_cbranch_execz .LBB4_94
; %bb.89:                               ;   in Loop: Header=BB4_86 Depth=2
	v_mov_b32_e32 v12, v6
	s_mov_b32 s12, 0
	s_branch .LBB4_91
.LBB4_90:                               ;   in Loop: Header=BB4_91 Depth=3
	s_wait_xcnt 0x0
	s_or_b32 exec_lo, exec_lo, s47
	s_delay_alu instid0(VALU_DEP_1) | instskip(SKIP_2) | instid1(SALU_CYCLE_1)
	v_cmp_ge_i32_e32 vcc_lo, v7, v1
	v_mov_b32_e32 v12, v10
	s_or_b32 s12, vcc_lo, s12
	s_and_not1_b32 exec_lo, exec_lo, s12
	s_cbranch_execz .LBB4_93
.LBB4_91:                               ;   Parent Loop BB4_11 Depth=1
                                        ;     Parent Loop BB4_86 Depth=2
                                        ; =>    This Inner Loop Header: Depth=3
	s_delay_alu instid0(VALU_DEP_1) | instskip(SKIP_1) | instid1(VALU_DEP_1)
	v_dual_mov_b32 v7, s37 :: v_dual_add_nc_u32 v10, 64, v12
	s_mov_b32 s47, exec_lo
	v_cmpx_gt_i32_e64 s15, v10
	s_cbranch_execz .LBB4_90
; %bb.92:                               ;   in Loop: Header=BB4_91 Depth=3
	global_load_b32 v7, v12, s[18:19] offset:256 scale_offset
	s_wait_loadcnt 0x0
	v_subrev_nc_u32_e32 v7, s14, v7
	s_branch .LBB4_90
.LBB4_93:                               ;   in Loop: Header=BB4_86 Depth=2
	s_or_b32 exec_lo, exec_lo, s12
.LBB4_94:                               ;   in Loop: Header=BB4_86 Depth=2
	s_delay_alu instid0(SALU_CYCLE_1)
	s_or_b32 exec_lo, exec_lo, s11
	v_cmp_eq_u32_e32 vcc_lo, v7, v1
	s_cbranch_vccz .LBB4_85
; %bb.95:                               ;   in Loop: Header=BB4_86 Depth=2
	s_ctz_i32_b32 s11, vcc_lo
	s_delay_alu instid0(SALU_CYCLE_1) | instskip(NEXT) | instid1(SALU_CYCLE_1)
	s_lshl_b32 s11, s11, 2
	v_mov_b32_e32 v1, s11
	ds_bpermute_b32 v32, v1, v10
	s_and_saveexec_b32 s11, s1
	s_delay_alu instid0(SALU_CYCLE_1)
	s_xor_b32 s11, exec_lo, s11
	s_cbranch_execz .LBB4_97
; %bb.96:                               ;   in Loop: Header=BB4_86 Depth=2
                                        ; implicit-def: $vgpr32
	s_wait_storecnt_dscnt 0x0
.LBB4_97:                               ;   in Loop: Header=BB4_86 Depth=2
	s_and_not1_saveexec_b32 s11, s11
	s_cbranch_execz .LBB4_84
; %bb.98:                               ;   in Loop: Header=BB4_86 Depth=2
	v_dual_mov_b32 v33, v17 :: v_dual_mov_b32 v34, v11
	v_dual_mov_b32 v35, v23 :: v_dual_mov_b32 v10, v13
	s_mul_i32 s12, s10, s13
	s_mov_b32 s47, 0
	s_mov_b32 s48, s12
	s_branch .LBB4_100
.LBB4_99:                               ;   in Loop: Header=BB4_100 Depth=3
	s_or_b32 exec_lo, exec_lo, s49
	v_add_nc_u32_e32 v10, 32, v10
	v_add_nc_u32_e32 v35, 0x80, v35
	;; [unrolled: 1-line block ×4, first 2 shown]
	s_delay_alu instid0(VALU_DEP_4) | instskip(SKIP_1) | instid1(SALU_CYCLE_1)
	v_cmp_le_i32_e32 vcc_lo, s13, v10
	s_or_b32 s47, vcc_lo, s47
	s_and_not1_b32 exec_lo, exec_lo, s47
	s_cbranch_execz .LBB4_114
.LBB4_100:                              ;   Parent Loop BB4_11 Depth=1
                                        ;     Parent Loop BB4_86 Depth=2
                                        ; =>    This Loop Header: Depth=3
                                        ;         Child Loop BB4_103 Depth 4
                                        ;         Child Loop BB4_110 Depth 4
	s_and_saveexec_b32 s49, s2
	s_cbranch_execz .LBB4_99
; %bb.101:                              ;   in Loop: Header=BB4_100 Depth=3
	v_dual_mov_b32 v1, v4 :: v_dual_mov_b32 v7, v27
	s_mov_b32 s51, -1
	s_and_saveexec_b32 s50, s6
	s_cbranch_execz .LBB4_107
; %bb.102:                              ;   in Loop: Header=BB4_100 Depth=3
	v_dual_mov_b32 v36, v18 :: v_dual_add_nc_u32 v1, s12, v10
	v_mov_b64_e32 v[14:15], v[4:5]
	s_mov_b32 s51, 0
	v_mov_b32_e32 v37, v35
	s_delay_alu instid0(VALU_DEP_3) | instskip(NEXT) | instid1(VALU_DEP_1)
	v_mul_lo_u32 v12, v1, s13
	v_dual_mov_b32 v1, v10 :: v_dual_mov_b32 v7, v12
.LBB4_103:                              ;   Parent Loop BB4_11 Depth=1
                                        ;     Parent Loop BB4_86 Depth=2
                                        ;       Parent Loop BB4_100 Depth=3
                                        ; =>      This Inner Loop Header: Depth=4
	s_delay_alu instid0(VALU_DEP_4) | instskip(NEXT) | instid1(VALU_DEP_2)
	v_dual_add_nc_u32 v38, s12, v14 :: v_dual_add_nc_u32 v39, s48, v15
	v_dual_add_nc_u32 v40, v14, v12 :: v_dual_add_nc_u32 v41, v15, v7
	v_dual_add_nc_u32 v36, -2, v36 :: v_dual_add_nc_u32 v15, 4, v15
	s_delay_alu instid0(VALU_DEP_3) | instskip(NEXT) | instid1(VALU_DEP_4)
	v_mad_u32 v38, v38, s13, v10
	v_mad_u32 v39, v39, s44, v1
	v_add_nc_u32_e32 v14, 4, v14
	s_delay_alu instid0(VALU_DEP_4) | instskip(SKIP_1) | instid1(VALU_DEP_3)
	v_cmp_eq_u32_e32 vcc_lo, 0, v36
	s_or_b32 s51, vcc_lo, s51
	v_dual_cndmask_b32 v38, v38, v40, s3 :: v_dual_cndmask_b32 v39, v39, v41, s3
	s_clause 0x1
	global_load_b32 v40, v38, s[20:21] scale_offset
	global_load_b32 v41, v39, s[20:21] scale_offset
	s_wait_loadcnt 0x0
	ds_store_2addr_b32 v37, v40, v41 offset1:66
	v_add_nc_u32_e32 v37, 0x210, v37
	s_wait_xcnt 0x0
	s_and_not1_b32 exec_lo, exec_lo, s51
	s_cbranch_execnz .LBB4_103
; %bb.104:                              ;   in Loop: Header=BB4_100 Depth=3
	s_or_b32 exec_lo, exec_lo, s51
	s_mov_b32 s51, 0
                                        ; implicit-def: $vgpr7
	s_and_saveexec_b32 s52, s7
; %bb.105:                              ;   in Loop: Header=BB4_100 Depth=3
	v_mul_lo_u32 v7, 0x84, v22
	s_mov_b32 s51, exec_lo
; %bb.106:                              ;   in Loop: Header=BB4_100 Depth=3
	s_or_b32 exec_lo, exec_lo, s52
	v_mov_b32_e32 v1, v22
	s_or_not1_b32 s51, s51, exec_lo
.LBB4_107:                              ;   in Loop: Header=BB4_100 Depth=3
	s_or_b32 exec_lo, exec_lo, s50
	s_delay_alu instid0(SALU_CYCLE_1)
	s_and_b32 exec_lo, exec_lo, s51
	s_cbranch_execz .LBB4_99
; %bb.108:                              ;   in Loop: Header=BB4_100 Depth=3
	s_delay_alu instid0(VALU_DEP_1)
	v_add_nc_u32_e32 v7, v33, v7
	s_mov_b32 s50, 0
	s_branch .LBB4_110
.LBB4_109:                              ;   in Loop: Header=BB4_110 Depth=4
	global_load_b32 v12, v12, s[20:21] scale_offset
	v_add_nc_u32_e32 v1, 2, v1
	s_delay_alu instid0(VALU_DEP_1)
	v_cmp_le_i32_e32 vcc_lo, s13, v1
	s_or_b32 s50, vcc_lo, s50
	s_wait_loadcnt 0x0
	ds_store_b32 v7, v12
	v_add_nc_u32_e32 v7, 0x108, v7
	s_wait_xcnt 0x0
	s_and_not1_b32 exec_lo, exec_lo, s50
	s_cbranch_execz .LBB4_99
.LBB4_110:                              ;   Parent Loop BB4_11 Depth=1
                                        ;     Parent Loop BB4_86 Depth=2
                                        ;       Parent Loop BB4_100 Depth=3
                                        ; =>      This Inner Loop Header: Depth=4
	s_and_b32 vcc_lo, exec_lo, s42
	s_mov_b32 s51, -1
                                        ; implicit-def: $vgpr12
	s_cbranch_vccz .LBB4_112
; %bb.111:                              ;   in Loop: Header=BB4_110 Depth=4
	v_add_nc_u32_e32 v12, s12, v1
	s_mov_b32 s51, 0
	s_delay_alu instid0(VALU_DEP_1)
	v_mad_u32 v12, v12, s13, v10
.LBB4_112:                              ;   in Loop: Header=BB4_110 Depth=4
	s_and_not1_b32 vcc_lo, exec_lo, s51
	s_cbranch_vccnz .LBB4_109
; %bb.113:                              ;   in Loop: Header=BB4_110 Depth=4
	v_add_nc_u32_e32 v12, v34, v1
	s_branch .LBB4_109
.LBB4_114:                              ;   in Loop: Header=BB4_86 Depth=2
	s_or_b32 exec_lo, exec_lo, s47
	s_wait_dscnt 0x0
	v_mul_lo_u32 v1, v32, s13
	v_dual_mov_b32 v7, v21 :: v_dual_mov_b32 v10, v13
	s_mov_b32 s12, 0
	s_wait_storecnt 0x0
	s_branch .LBB4_116
.LBB4_115:                              ;   in Loop: Header=BB4_116 Depth=3
	s_or_b32 exec_lo, exec_lo, s47
	v_add_nc_u32_e32 v10, 32, v10
	v_add_nc_u32_e32 v7, 0x80, v7
	s_delay_alu instid0(VALU_DEP_2) | instskip(SKIP_1) | instid1(SALU_CYCLE_1)
	v_cmp_le_i32_e32 vcc_lo, s13, v10
	s_or_b32 s12, vcc_lo, s12
	s_and_not1_b32 exec_lo, exec_lo, s12
	s_cbranch_execz .LBB4_83
.LBB4_116:                              ;   Parent Loop BB4_11 Depth=1
                                        ;     Parent Loop BB4_86 Depth=2
                                        ; =>    This Loop Header: Depth=3
                                        ;         Child Loop BB4_119 Depth 4
                                        ;           Child Loop BB4_120 Depth 5
	s_and_saveexec_b32 s47, s2
	s_cbranch_execz .LBB4_115
; %bb.117:                              ;   in Loop: Header=BB4_116 Depth=3
	s_delay_alu instid0(VALU_DEP_2) | instskip(SKIP_2) | instid1(VALU_DEP_2)
	v_dual_add_nc_u32 v12, v10, v1 :: v_dual_mov_b32 v14, v27
	v_mov_b32_e32 v15, v4
	s_mov_b32 s48, 0
	v_mul_lo_u32 v12, v12, s13
	s_branch .LBB4_119
.LBB4_118:                              ;   in Loop: Header=BB4_119 Depth=4
	global_load_b32 v34, v33, s[20:21] scale_offset
	v_add_nc_u32_e32 v15, 2, v15
	v_add_nc_u32_e32 v14, 0x108, v14
	s_wait_loadcnt 0x0
	v_sub_f32_e32 v32, v34, v32
	s_delay_alu instid0(VALU_DEP_3)
	v_cmp_le_i32_e32 vcc_lo, s13, v15
	global_store_b32 v33, v32, s[20:21] scale_offset
	s_or_b32 s48, vcc_lo, s48
	s_wait_xcnt 0x0
	s_and_not1_b32 exec_lo, exec_lo, s48
	s_cbranch_execz .LBB4_115
.LBB4_119:                              ;   Parent Loop BB4_11 Depth=1
                                        ;     Parent Loop BB4_86 Depth=2
                                        ;       Parent Loop BB4_116 Depth=3
                                        ; =>      This Loop Header: Depth=4
                                        ;           Child Loop BB4_120 Depth 5
	v_dual_mov_b32 v32, 0 :: v_dual_mov_b32 v33, v7
	v_mov_b32_e32 v34, v14
	s_mov_b32 s49, s13
.LBB4_120:                              ;   Parent Loop BB4_11 Depth=1
                                        ;     Parent Loop BB4_86 Depth=2
                                        ;       Parent Loop BB4_116 Depth=3
                                        ;         Parent Loop BB4_119 Depth=4
                                        ; =>        This Inner Loop Header: Depth=5
	ds_load_b32 v35, v33
	ds_load_b32 v36, v34
	v_add_nc_u32_e32 v34, 4, v34
	v_add_nc_u32_e32 v33, 0x84, v33
	s_add_co_i32 s49, s49, -1
	s_delay_alu instid0(SALU_CYCLE_1)
	s_cmp_eq_u32 s49, 0
	s_wait_dscnt 0x0
	v_fmac_f32_e32 v32, v35, v36
	s_cbranch_scc0 .LBB4_120
; %bb.121:                              ;   in Loop: Header=BB4_119 Depth=4
	s_and_b32 vcc_lo, exec_lo, s42
	s_mov_b32 s49, -1
                                        ; implicit-def: $vgpr33
	s_cbranch_vccz .LBB4_123
; %bb.122:                              ;   in Loop: Header=BB4_119 Depth=4
	v_add_nc_u32_e32 v33, v15, v1
	s_mov_b32 s49, 0
	s_delay_alu instid0(VALU_DEP_1)
	v_mad_u32 v33, v33, s13, v10
.LBB4_123:                              ;   in Loop: Header=BB4_119 Depth=4
	s_and_not1_b32 vcc_lo, exec_lo, s49
	s_cbranch_vccnz .LBB4_118
; %bb.124:                              ;   in Loop: Header=BB4_119 Depth=4
	v_add_nc_u32_e32 v33, v15, v12
	s_branch .LBB4_118
.LBB4_125:
	s_wait_xcnt 0x0
	v_mov_b32_e32 v1, s35
	global_load_b32 v1, v1, s[18:19] scale_offset
	s_wait_loadcnt 0x0
	s_wait_xcnt 0x0
	v_subrev_nc_u32_e32 v1, s14, v1
	s_delay_alu instid0(VALU_DEP_1)
	v_cmp_ne_u32_e32 vcc_lo, s34, v1
	s_cbranch_vccnz .LBB4_184
; %bb.126:
	v_and_b32_e32 v4, 0x3ff, v0
	s_delay_alu instid0(VALU_DEP_1)
	v_cmp_gt_i32_e64 s0, s13, v4
	v_lshlrev_b32_e32 v11, 2, v4
	s_and_saveexec_b32 s5, s0
	s_cbranch_execz .LBB4_144
; %bb.127:
	v_bfe_u32 v6, v0, 10, 10
	s_mul_i32 s7, s35, s13
	s_cmp_lg_u32 s36, 0
	v_mov_b32_e32 v8, v4
	s_cselect_b32 s6, -1, 0
	v_xad_u32 v1, v6, -1, s13
	v_cmp_gt_u32_e64 s1, s13, v6
	v_mul_u32_u24_e32 v18, 0x84, v6
	s_cmp_eq_u32 s36, 0
	s_mov_b32 s8, 0
	v_dual_lshrrev_b32 v5, 1, v1 :: v_dual_add_nc_u32 v7, s7, v4
	v_cmp_lt_u32_e64 s3, 1, v1
	s_cselect_b32 s2, -1, 0
	s_mov_b32 s9, s7
	v_dual_add_nc_u32 v5, 1, v5 :: v_dual_lshlrev_b32 v15, 2, v4
	v_mul_lo_u32 v16, s13, v7
	s_mov_b32 s10, s13
	s_lshl_b32 s11, s13, 5
	s_delay_alu instid0(VALU_DEP_2) | instskip(SKIP_1) | instid1(VALU_DEP_2)
	v_dual_add_nc_u32 v7, 2, v6 :: v_dual_bitop2_b32 v9, -2, v5 bitop3:0x40
	v_mad_u32_u24 v19, 0x84, v6, v15
	v_lshl_add_u32 v14, v9, 1, v6
	v_cmp_ne_u32_e64 s4, v5, v9
	s_delay_alu instid0(VALU_DEP_2)
	v_mul_lo_u32 v17, 0x84, v14
	s_branch .LBB4_129
.LBB4_128:                              ;   in Loop: Header=BB4_129 Depth=1
	s_or_b32 exec_lo, exec_lo, s12
	v_add_nc_u32_e32 v8, 32, v8
	v_add_nc_u32_e32 v19, 0x80, v19
	;; [unrolled: 1-line block ×4, first 2 shown]
	s_delay_alu instid0(VALU_DEP_4) | instskip(SKIP_1) | instid1(SALU_CYCLE_1)
	v_cmp_le_i32_e32 vcc_lo, s13, v8
	s_or_b32 s8, vcc_lo, s8
	s_and_not1_b32 exec_lo, exec_lo, s8
	s_cbranch_execz .LBB4_144
.LBB4_129:                              ; =>This Loop Header: Depth=1
                                        ;     Child Loop BB4_132 Depth 2
                                        ;     Child Loop BB4_139 Depth 2
	s_and_saveexec_b32 s12, s1
	s_cbranch_execz .LBB4_128
; %bb.130:                              ;   in Loop: Header=BB4_129 Depth=1
	v_dual_mov_b32 v1, v6 :: v_dual_mov_b32 v5, v18
	s_mov_b32 s17, -1
	s_and_saveexec_b32 s16, s3
	s_cbranch_execz .LBB4_136
; %bb.131:                              ;   in Loop: Header=BB4_129 Depth=1
	v_dual_mov_b32 v20, v9 :: v_dual_add_nc_u32 v1, s7, v8
	v_mov_b64_e32 v[12:13], v[6:7]
	s_mov_b32 s17, 0
	v_mov_b32_e32 v21, v19
	s_delay_alu instid0(VALU_DEP_3) | instskip(NEXT) | instid1(VALU_DEP_1)
	v_mul_lo_u32 v10, v1, s13
	v_dual_mov_b32 v1, v8 :: v_dual_mov_b32 v5, v10
.LBB4_132:                              ;   Parent Loop BB4_129 Depth=1
                                        ; =>  This Inner Loop Header: Depth=2
	s_delay_alu instid0(VALU_DEP_4) | instskip(NEXT) | instid1(VALU_DEP_2)
	v_dual_add_nc_u32 v22, s7, v12 :: v_dual_add_nc_u32 v23, s9, v13
	v_dual_add_nc_u32 v24, v12, v10 :: v_dual_add_nc_u32 v25, v13, v5
	v_dual_add_nc_u32 v20, -2, v20 :: v_dual_add_nc_u32 v13, 4, v13
	s_delay_alu instid0(VALU_DEP_3) | instskip(NEXT) | instid1(VALU_DEP_4)
	v_mad_u32 v22, v22, s13, v8
	v_mad_u32 v23, v23, s10, v1
	v_add_nc_u32_e32 v12, 4, v12
	s_delay_alu instid0(VALU_DEP_4) | instskip(SKIP_1) | instid1(VALU_DEP_3)
	v_cmp_eq_u32_e32 vcc_lo, 0, v20
	s_or_b32 s17, vcc_lo, s17
	v_dual_cndmask_b32 v22, v22, v24, s2 :: v_dual_cndmask_b32 v23, v23, v25, s2
	s_clause 0x1
	global_load_b32 v24, v22, s[20:21] scale_offset
	global_load_b32 v25, v23, s[20:21] scale_offset
	s_wait_loadcnt 0x0
	ds_store_2addr_b32 v21, v24, v25 offset1:66
	v_add_nc_u32_e32 v21, 0x210, v21
	s_wait_xcnt 0x0
	s_and_not1_b32 exec_lo, exec_lo, s17
	s_cbranch_execnz .LBB4_132
; %bb.133:                              ;   in Loop: Header=BB4_129 Depth=1
	s_or_b32 exec_lo, exec_lo, s17
	s_mov_b32 s17, 0
	s_and_saveexec_b32 s18, s4
; %bb.134:                              ;   in Loop: Header=BB4_129 Depth=1
	s_mov_b32 s17, exec_lo
; %bb.135:                              ;   in Loop: Header=BB4_129 Depth=1
	s_or_b32 exec_lo, exec_lo, s18
	v_dual_mov_b32 v1, v14 :: v_dual_mov_b32 v5, v17
	s_or_not1_b32 s17, s17, exec_lo
.LBB4_136:                              ;   in Loop: Header=BB4_129 Depth=1
	s_or_b32 exec_lo, exec_lo, s16
	s_delay_alu instid0(SALU_CYCLE_1)
	s_and_b32 exec_lo, exec_lo, s17
	s_cbranch_execz .LBB4_128
; %bb.137:                              ;   in Loop: Header=BB4_129 Depth=1
	v_add_nc_u32_e32 v5, v15, v5
	s_mov_b32 s16, 0
	s_branch .LBB4_139
.LBB4_138:                              ;   in Loop: Header=BB4_139 Depth=2
	global_load_b32 v10, v10, s[20:21] scale_offset
	v_add_nc_u32_e32 v1, 2, v1
	s_delay_alu instid0(VALU_DEP_1)
	v_cmp_le_i32_e32 vcc_lo, s13, v1
	s_or_b32 s16, vcc_lo, s16
	s_wait_loadcnt 0x0
	ds_store_b32 v5, v10
	v_add_nc_u32_e32 v5, 0x108, v5
	s_wait_xcnt 0x0
	s_and_not1_b32 exec_lo, exec_lo, s16
	s_cbranch_execz .LBB4_128
.LBB4_139:                              ;   Parent Loop BB4_129 Depth=1
                                        ; =>  This Inner Loop Header: Depth=2
	s_and_b32 vcc_lo, exec_lo, s6
	s_mov_b32 s17, -1
                                        ; implicit-def: $vgpr10
	s_cbranch_vccz .LBB4_141
; %bb.140:                              ;   in Loop: Header=BB4_139 Depth=2
	v_add_nc_u32_e32 v10, s7, v1
	s_mov_b32 s17, 0
	s_delay_alu instid0(VALU_DEP_1)
	v_mad_u32 v10, v10, s13, v8
.LBB4_141:                              ;   in Loop: Header=BB4_139 Depth=2
	s_and_not1_b32 vcc_lo, exec_lo, s17
	s_cbranch_vccnz .LBB4_138
; %bb.142:                              ;   in Loop: Header=BB4_139 Depth=2
	v_add_nc_u32_e32 v10, v16, v1
	s_branch .LBB4_138
.LBB4_143:
	s_mov_b32 s33, -1
	s_branch .LBB4_250
.LBB4_144:
	s_or_b32 exec_lo, exec_lo, s5
	s_cmp_lt_i32 s13, 1
	s_wait_storecnt_dscnt 0x0
	s_cbranch_scc1 .LBB4_166
; %bb.145:
	v_cvt_f64_f32_e32 v[8:9], s40
	v_bfe_u32 v1, v0, 10, 10
	v_lshlrev_b32_e32 v6, 2, v4
	s_cmp_eq_u64 s[24:25], 8
	s_mov_b32 s4, 0
	s_cselect_b32 vcc_lo, -1, 0
	v_or_b32_e32 v7, v4, v1
	v_mul_u32_u24_e32 v10, 0x84, v1
	v_cmp_eq_u32_e64 s1, 0, v1
	v_mad_u32_u24 v5, 0x84, v1, 0x84
	s_delay_alu instid0(VALU_DEP_4) | instskip(NEXT) | instid1(VALU_DEP_4)
	v_cmp_eq_u32_e64 s2, 0, v7
	v_add3_u32 v6, v10, v6, 0x88
	v_dual_cndmask_b32 v3, v9, v3 :: v_dual_cndmask_b32 v2, v8, v2
.LBB4_146:                              ; =>This Loop Header: Depth=1
                                        ;     Child Loop BB4_158 Depth 2
                                        ;       Child Loop BB4_162 Depth 3
	s_mul_i32 s5, s4, 0x84
	s_lshl_b32 s3, s4, 2
	s_mov_b32 s8, -1
	s_add_co_i32 s7, s5, s3
	s_and_not1_b32 vcc_lo, exec_lo, s38
	v_mov_b32_e32 v7, s7
	s_mov_b32 s6, 0
	ds_load_b32 v7, v7
	s_wait_dscnt 0x0
	v_readfirstlane_b32 s3, v7
                                        ; implicit-def: $vgpr7
	s_cbranch_vccz .LBB4_151
; %bb.147:                              ;   in Loop: Header=BB4_146 Depth=1
	s_and_not1_b32 vcc_lo, exec_lo, s8
	s_mov_b32 s7, 0
	s_cbranch_vccz .LBB4_154
.LBB4_148:                              ;   in Loop: Header=BB4_146 Depth=1
	s_and_not1_b32 vcc_lo, exec_lo, s6
                                        ; implicit-def: $sgpr6
	s_cbranch_vccz .LBB4_155
.LBB4_149:                              ;   in Loop: Header=BB4_146 Depth=1
	s_and_not1_b32 vcc_lo, exec_lo, s7
	s_cbranch_vccz .LBB4_164
.LBB4_150:                              ;   in Loop: Header=BB4_146 Depth=1
	v_add_nc_u32_e32 v6, 0x88, v6
	v_add_nc_u32_e32 v5, 0x88, v5
	s_cmp_eq_u32 s6, s13
	s_cbranch_scc0 .LBB4_165
	s_branch .LBB4_166
.LBB4_151:                              ;   in Loop: Header=BB4_146 Depth=1
	s_xor_b32 s6, s3, 0x80000000
	s_cmp_lt_f32 s3, 0
	v_mov_b32_e32 v7, s39
	s_cselect_b32 s6, s6, s3
	s_delay_alu instid0(SALU_CYCLE_1) | instskip(NEXT) | instid1(VALU_DEP_1)
	v_cvt_f64_f32_e32 v[8:9], s6
	v_cmp_ge_f64_e32 vcc_lo, v[2:3], v[8:9]
	s_delay_alu instid0(VALU_DEP_3)
	v_cndmask_b32_e32 v7, s3, v7, vcc_lo
	s_and_saveexec_b32 s6, s2
; %bb.152:                              ;   in Loop: Header=BB4_146 Depth=1
	v_mov_b32_e32 v8, s7
	ds_store_b32 v8, v7
; %bb.153:                              ;   in Loop: Header=BB4_146 Depth=1
	s_or_b32 exec_lo, exec_lo, s6
	s_mov_b32 s6, -1
	s_mov_b32 s7, 0
	s_cbranch_execnz .LBB4_148
.LBB4_154:                              ;   in Loop: Header=BB4_146 Depth=1
	s_cmp_neq_f32 s3, 0
	v_mov_b32_e32 v7, s3
	s_mov_b32 s7, -1
	s_cselect_b32 s6, -1, 0
	s_delay_alu instid0(SALU_CYCLE_1)
	s_and_not1_b32 vcc_lo, exec_lo, s6
                                        ; implicit-def: $sgpr6
	s_cbranch_vccnz .LBB4_149
.LBB4_155:                              ;   in Loop: Header=BB4_146 Depth=1
	s_add_co_i32 s6, s4, 1
	s_mov_b32 s7, exec_lo
	v_add_nc_u32_e32 v8, s6, v4
	s_delay_alu instid0(VALU_DEP_1)
	v_cmpx_gt_i32_e64 s13, v8
	s_cbranch_execz .LBB4_163
; %bb.156:                              ;   in Loop: Header=BB4_146 Depth=1
	v_dual_mov_b32 v10, v6 :: v_dual_add_nc_u32 v9, s6, v1
	s_mov_b32 s8, 0
	s_delay_alu instid0(VALU_DEP_1)
	v_cmp_gt_i32_e64 s3, s13, v9
	s_branch .LBB4_158
.LBB4_157:                              ;   in Loop: Header=BB4_158 Depth=2
	s_or_b32 exec_lo, exec_lo, s9
	v_add_nc_u32_e32 v8, 32, v8
	v_add_nc_u32_e32 v10, 0x80, v10
	s_delay_alu instid0(VALU_DEP_2) | instskip(SKIP_1) | instid1(SALU_CYCLE_1)
	v_cmp_le_i32_e32 vcc_lo, s13, v8
	s_or_b32 s8, vcc_lo, s8
	s_and_not1_b32 exec_lo, exec_lo, s8
	s_cbranch_execz .LBB4_163
.LBB4_158:                              ;   Parent Loop BB4_146 Depth=1
                                        ; =>  This Loop Header: Depth=2
                                        ;       Child Loop BB4_162 Depth 3
	v_lshl_add_u32 v13, v8, 2, s5
	ds_load_b32 v12, v13
	s_wait_dscnt 0x0
	v_div_scale_f32 v14, null, v7, v7, v12
	s_delay_alu instid0(VALU_DEP_1) | instskip(SKIP_1) | instid1(TRANS32_DEP_1)
	v_rcp_f32_e32 v15, v14
	v_nop
	v_fma_f32 v16, -v14, v15, 1.0
	s_delay_alu instid0(VALU_DEP_1) | instskip(SKIP_1) | instid1(VALU_DEP_1)
	v_fmac_f32_e32 v15, v16, v15
	v_div_scale_f32 v16, vcc_lo, v12, v7, v12
	v_mul_f32_e32 v17, v16, v15
	s_delay_alu instid0(VALU_DEP_1) | instskip(NEXT) | instid1(VALU_DEP_1)
	v_fma_f32 v18, -v14, v17, v16
	v_fmac_f32_e32 v17, v18, v15
	s_delay_alu instid0(VALU_DEP_1) | instskip(NEXT) | instid1(VALU_DEP_1)
	v_fma_f32 v14, -v14, v17, v16
	v_div_fmas_f32 v14, v14, v15, v17
	s_delay_alu instid0(VALU_DEP_1)
	v_div_fixup_f32 v12, v14, v7, v12
	s_and_saveexec_b32 s9, s1
; %bb.159:                              ;   in Loop: Header=BB4_158 Depth=2
	ds_store_b32 v13, v12
; %bb.160:                              ;   in Loop: Header=BB4_158 Depth=2
	s_or_b32 exec_lo, exec_lo, s9
	s_and_saveexec_b32 s9, s3
	s_cbranch_execz .LBB4_157
; %bb.161:                              ;   in Loop: Header=BB4_158 Depth=2
	v_dual_mov_b32 v13, v5 :: v_dual_mov_b32 v14, v10
	v_mov_b32_e32 v15, v9
	s_mov_b32 s10, 0
.LBB4_162:                              ;   Parent Loop BB4_146 Depth=1
                                        ;     Parent Loop BB4_158 Depth=2
                                        ; =>    This Inner Loop Header: Depth=3
	ds_load_b32 v16, v13
	ds_load_b32 v17, v14
	v_add_nc_u32_e32 v15, 2, v15
	v_add_nc_u32_e32 v13, 0x108, v13
	s_wait_dscnt 0x0
	v_fma_f32 v16, -v12, v16, v17
	s_delay_alu instid0(VALU_DEP_3) | instskip(SKIP_3) | instid1(SALU_CYCLE_1)
	v_cmp_le_i32_e32 vcc_lo, s13, v15
	ds_store_b32 v14, v16
	v_add_nc_u32_e32 v14, 0x108, v14
	s_or_b32 s10, vcc_lo, s10
	s_and_not1_b32 exec_lo, exec_lo, s10
	s_cbranch_execnz .LBB4_162
	s_branch .LBB4_157
.LBB4_163:                              ;   in Loop: Header=BB4_146 Depth=1
	s_or_b32 exec_lo, exec_lo, s7
	s_cbranch_execnz .LBB4_150
.LBB4_164:                              ;   in Loop: Header=BB4_146 Depth=1
	s_add_co_i32 s6, s4, 1
	s_mov_b32 s33, -1
	v_add_nc_u32_e32 v6, 0x88, v6
	v_add_nc_u32_e32 v5, 0x88, v5
	s_cmp_eq_u32 s6, s13
	s_cbranch_scc1 .LBB4_166
.LBB4_165:                              ;   in Loop: Header=BB4_146 Depth=1
	s_mov_b32 s4, s6
	s_branch .LBB4_146
.LBB4_166:
	s_wait_dscnt 0x0
	s_and_saveexec_b32 s4, s0
	s_cbranch_execz .LBB4_183
; %bb.167:
	v_bfe_u32 v2, v0, 10, 10
	s_mul_i32 s5, s35, s13
	s_cmp_lg_u32 s36, 0
	s_mov_b32 s6, 0
	s_cselect_b32 s7, -1, 0
	v_xad_u32 v1, v2, -1, s13
	v_cmp_gt_u32_e64 s0, s13, v2
	v_mul_u32_u24_e32 v14, 0x84, v2
	v_mad_u32_u24 v15, 0x84, v2, v11
	s_cmp_eq_u32 s36, 0
	v_lshrrev_b32_e32 v3, 1, v1
	v_cmp_lt_u32_e64 s2, 1, v1
	s_cselect_b32 s1, -1, 0
	s_mov_b32 s8, s5
	s_mov_b32 s9, s13
	v_dual_add_nc_u32 v5, 1, v3 :: v_dual_add_nc_u32 v3, s5, v4
	s_lshl_b32 s10, s13, 5
	s_delay_alu instid0(VALU_DEP_1) | instskip(NEXT) | instid1(VALU_DEP_2)
	v_and_b32_e32 v7, -2, v5
	v_mul_lo_u32 v12, s13, v3
	v_add_nc_u32_e32 v3, 2, v2
	s_delay_alu instid0(VALU_DEP_3) | instskip(SKIP_1) | instid1(VALU_DEP_2)
	v_lshl_add_u32 v10, v7, 1, v2
	v_cmp_ne_u32_e64 s3, v5, v7
	v_mul_lo_u32 v13, 0x84, v10
	s_branch .LBB4_169
.LBB4_168:                              ;   in Loop: Header=BB4_169 Depth=1
	s_or_b32 exec_lo, exec_lo, s11
	v_add_nc_u32_e32 v4, 32, v4
	v_add_nc_u32_e32 v15, 0x80, v15
	;; [unrolled: 1-line block ×4, first 2 shown]
	s_delay_alu instid0(VALU_DEP_4) | instskip(SKIP_1) | instid1(SALU_CYCLE_1)
	v_cmp_le_i32_e32 vcc_lo, s13, v4
	s_or_b32 s6, vcc_lo, s6
	s_and_not1_b32 exec_lo, exec_lo, s6
	s_cbranch_execz .LBB4_183
.LBB4_169:                              ; =>This Loop Header: Depth=1
                                        ;     Child Loop BB4_172 Depth 2
                                        ;     Child Loop BB4_179 Depth 2
	s_and_saveexec_b32 s11, s0
	s_cbranch_execz .LBB4_168
; %bb.170:                              ;   in Loop: Header=BB4_169 Depth=1
	v_dual_mov_b32 v1, v2 :: v_dual_mov_b32 v5, v14
	s_mov_b32 s16, -1
	s_and_saveexec_b32 s12, s2
	s_cbranch_execz .LBB4_176
; %bb.171:                              ;   in Loop: Header=BB4_169 Depth=1
	v_dual_mov_b32 v16, v7 :: v_dual_add_nc_u32 v1, s5, v4
	v_mov_b64_e32 v[8:9], v[2:3]
	s_mov_b32 s16, 0
	v_mov_b32_e32 v17, v15
	s_delay_alu instid0(VALU_DEP_3) | instskip(NEXT) | instid1(VALU_DEP_1)
	v_mul_lo_u32 v6, v1, s13
	v_dual_mov_b32 v1, v4 :: v_dual_mov_b32 v5, v6
.LBB4_172:                              ;   Parent Loop BB4_169 Depth=1
                                        ; =>  This Inner Loop Header: Depth=2
	s_delay_alu instid0(VALU_DEP_4)
	v_dual_add_nc_u32 v20, s8, v9 :: v_dual_add_nc_u32 v21, s5, v8
	ds_load_2addr_b32 v[18:19], v17 offset1:66
	v_dual_add_nc_u32 v16, -2, v16 :: v_dual_add_nc_u32 v22, v8, v6
	v_mad_u32 v20, v20, s9, v1
	v_mad_u32 v21, v21, s13, v4
	v_dual_add_nc_u32 v23, v9, v5 :: v_dual_add_nc_u32 v8, 4, v8
	s_delay_alu instid0(VALU_DEP_4)
	v_cmp_eq_u32_e32 vcc_lo, 0, v16
	v_add_nc_u32_e32 v9, 4, v9
	v_add_nc_u32_e32 v17, 0x210, v17
	s_or_b32 s16, vcc_lo, s16
	v_dual_cndmask_b32 v20, v20, v23, s1 :: v_dual_cndmask_b32 v21, v21, v22, s1
	s_wait_dscnt 0x0
	s_clause 0x1
	global_store_b32 v21, v18, s[20:21] scale_offset
	global_store_b32 v20, v19, s[20:21] scale_offset
	s_wait_xcnt 0x0
	s_and_not1_b32 exec_lo, exec_lo, s16
	s_cbranch_execnz .LBB4_172
; %bb.173:                              ;   in Loop: Header=BB4_169 Depth=1
	s_or_b32 exec_lo, exec_lo, s16
	s_mov_b32 s16, 0
	s_and_saveexec_b32 s17, s3
; %bb.174:                              ;   in Loop: Header=BB4_169 Depth=1
	s_mov_b32 s16, exec_lo
; %bb.175:                              ;   in Loop: Header=BB4_169 Depth=1
	s_or_b32 exec_lo, exec_lo, s17
	v_dual_mov_b32 v1, v10 :: v_dual_mov_b32 v5, v13
	s_or_not1_b32 s16, s16, exec_lo
.LBB4_176:                              ;   in Loop: Header=BB4_169 Depth=1
	s_or_b32 exec_lo, exec_lo, s12
	s_delay_alu instid0(SALU_CYCLE_1)
	s_and_b32 exec_lo, exec_lo, s16
	s_cbranch_execz .LBB4_168
; %bb.177:                              ;   in Loop: Header=BB4_169 Depth=1
	v_add_nc_u32_e32 v5, v11, v5
	s_mov_b32 s12, 0
	s_branch .LBB4_179
.LBB4_178:                              ;   in Loop: Header=BB4_179 Depth=2
	v_add_nc_u32_e32 v1, 2, v1
	v_add_nc_u32_e32 v5, 0x108, v5
	s_wait_dscnt 0x0
	global_store_b32 v8, v6, s[20:21] scale_offset
	v_cmp_le_i32_e32 vcc_lo, s13, v1
	s_or_b32 s12, vcc_lo, s12
	s_wait_xcnt 0x0
	s_and_not1_b32 exec_lo, exec_lo, s12
	s_cbranch_execz .LBB4_168
.LBB4_179:                              ;   Parent Loop BB4_169 Depth=1
                                        ; =>  This Inner Loop Header: Depth=2
	ds_load_b32 v6, v5
	s_and_b32 vcc_lo, exec_lo, s7
	s_mov_b32 s16, -1
                                        ; implicit-def: $vgpr8
	s_cbranch_vccz .LBB4_181
; %bb.180:                              ;   in Loop: Header=BB4_179 Depth=2
	v_add_nc_u32_e32 v8, s5, v1
	s_mov_b32 s16, 0
	s_delay_alu instid0(VALU_DEP_1)
	v_mad_u32 v8, v8, s13, v4
.LBB4_181:                              ;   in Loop: Header=BB4_179 Depth=2
	s_and_not1_b32 vcc_lo, exec_lo, s16
	s_cbranch_vccnz .LBB4_178
; %bb.182:                              ;   in Loop: Header=BB4_179 Depth=2
	v_add_nc_u32_e32 v8, v12, v1
	s_branch .LBB4_178
.LBB4_183:
	s_or_b32 exec_lo, exec_lo, s4
.LBB4_184:
	s_add_co_i32 s7, s35, 1
	s_delay_alu instid0(SALU_CYCLE_1)
	s_cmp_ge_i32 s7, s15
	s_cbranch_scc1 .LBB4_250
; %bb.185:
	s_wait_dscnt 0x0
	v_bfe_u32 v2, v0, 10, 10
	v_and_b32_e32 v7, 0x3ff, v0
	s_cmp_lg_u32 s36, 0
	s_movk_i32 s6, 0x1084
	s_cselect_b32 s8, -1, 0
	v_xad_u32 v1, v2, -1, s13
	v_mad_u32 v5, s13, s7, v7
	s_cmp_eq_u32 s36, 0
	v_lshl_add_u32 v11, v7, 2, 0x1080
	s_cselect_b32 s0, -1, 0
	v_dual_lshrrev_b32 v4, 1, v1 :: v_dual_add_nc_u32 v10, 1, v2
	v_add_nc_u32_e32 v3, 2, v2
	s_cmp_gt_i32 s13, 0
	v_cmp_lt_u32_e64 s4, 1, v1
	s_delay_alu instid0(VALU_DEP_3)
	v_add_nc_u32_e32 v4, 1, v4
	s_cselect_b32 s9, -1, 0
	s_cmp_lg_u32 s13, 1
	v_cmp_gt_i32_e64 s1, s13, v7
	s_cselect_b32 s10, -1, 0
	v_dual_lshlrev_b32 v6, 2, v2 :: v_dual_bitop2_b32 v12, -2, v4 bitop3:0x40
	s_and_b32 s11, s13, 0x7ffffffe
	s_bitcmp1_b32 s13, 0
	v_cmp_le_i32_e64 s2, s13, v7
	s_delay_alu instid0(VALU_DEP_2)
	v_lshl_add_u32 v13, v12, 1, v2
	v_mad_u32_u24 v1, 0x84, v7, v6
	v_cmp_gt_i32_e64 s3, s13, v2
	v_cmp_ne_u32_e64 s5, v4, v12
	v_mul_u32_u24_e32 v14, 0x84, v2
	v_mad_u32_u24 v15, 0x84, v2, v11
	v_mul_lo_u32 v16, s13, v5
	v_add_nc_u32_e32 v17, 0x1084, v1
	v_add_nc_u32_e32 v18, 4, v6
	;; [unrolled: 1-line block ×3, first 2 shown]
	v_mul_lo_u32 v20, 0x84, v13
	v_add_nc_u32_e32 v21, 0x1088, v1
	v_mad_u32_u24 v22, 0x84, v7, s6
	s_cselect_b32 s12, -1, 0
	s_mov_b32 s16, s13
	s_mul_i32 s17, s13, s13
	s_lshl_b32 s18, s13, 5
	s_branch .LBB4_188
.LBB4_186:                              ;   in Loop: Header=BB4_188 Depth=1
	s_or_b32 exec_lo, exec_lo, s19
.LBB4_187:                              ;   in Loop: Header=BB4_188 Depth=1
	s_delay_alu instid0(SALU_CYCLE_1) | instskip(SKIP_2) | instid1(SALU_CYCLE_1)
	s_or_b32 exec_lo, exec_lo, s6
	v_add_nc_u32_e32 v16, s17, v16
	s_add_co_i32 s7, s7, 1
	s_cmp_ge_i32 s7, s15
	s_cbranch_scc1 .LBB4_250
.LBB4_188:                              ; =>This Loop Header: Depth=1
                                        ;     Child Loop BB4_191 Depth 2
                                        ;       Child Loop BB4_194 Depth 3
                                        ;       Child Loop BB4_201 Depth 3
                                        ;     Child Loop BB4_209 Depth 2
                                        ;       Child Loop BB4_212 Depth 3
                                        ;         Child Loop BB4_214 Depth 4
                                        ;       Child Loop BB4_217 Depth 3
                                        ;         Child Loop BB4_219 Depth 4
                                        ;     Child Loop BB4_226 Depth 2
                                        ;       Child Loop BB4_228 Depth 3
                                        ;     Child Loop BB4_236 Depth 2
                                        ;       Child Loop BB4_239 Depth 3
                                        ;       Child Loop BB4_246 Depth 3
	s_wait_storecnt 0x0
	s_and_saveexec_b32 s6, s1
	s_cbranch_execz .LBB4_205
; %bb.189:                              ;   in Loop: Header=BB4_188 Depth=1
	v_dual_mov_b32 v23, v11 :: v_dual_mov_b32 v24, v16
	v_dual_mov_b32 v25, v15 :: v_dual_mov_b32 v4, v7
	s_mul_i32 s19, s7, s13
	s_mov_b32 s23, 0
	s_mov_b32 s22, s19
	s_branch .LBB4_191
.LBB4_190:                              ;   in Loop: Header=BB4_191 Depth=2
	s_or_b32 exec_lo, exec_lo, s24
	v_add_nc_u32_e32 v4, 32, v4
	v_add_nc_u32_e32 v25, 0x80, v25
	;; [unrolled: 1-line block ×4, first 2 shown]
	s_delay_alu instid0(VALU_DEP_4) | instskip(SKIP_1) | instid1(SALU_CYCLE_1)
	v_cmp_le_i32_e32 vcc_lo, s13, v4
	s_or_b32 s23, vcc_lo, s23
	s_and_not1_b32 exec_lo, exec_lo, s23
	s_cbranch_execz .LBB4_205
.LBB4_191:                              ;   Parent Loop BB4_188 Depth=1
                                        ; =>  This Loop Header: Depth=2
                                        ;       Child Loop BB4_194 Depth 3
                                        ;       Child Loop BB4_201 Depth 3
	s_and_saveexec_b32 s24, s3
	s_cbranch_execz .LBB4_190
; %bb.192:                              ;   in Loop: Header=BB4_191 Depth=2
	v_dual_mov_b32 v1, v2 :: v_dual_mov_b32 v5, v14
	s_mov_b32 s35, -1
	s_and_saveexec_b32 s25, s4
	s_cbranch_execz .LBB4_198
; %bb.193:                              ;   in Loop: Header=BB4_191 Depth=2
	v_dual_mov_b32 v26, v12 :: v_dual_add_nc_u32 v1, s19, v4
	v_mov_b64_e32 v[8:9], v[2:3]
	s_mov_b32 s35, 0
	v_mov_b32_e32 v27, v25
	s_delay_alu instid0(VALU_DEP_3) | instskip(NEXT) | instid1(VALU_DEP_1)
	v_mul_lo_u32 v6, v1, s13
	v_dual_mov_b32 v1, v4 :: v_dual_mov_b32 v5, v6
.LBB4_194:                              ;   Parent Loop BB4_188 Depth=1
                                        ;     Parent Loop BB4_191 Depth=2
                                        ; =>    This Inner Loop Header: Depth=3
	s_delay_alu instid0(VALU_DEP_4) | instskip(NEXT) | instid1(VALU_DEP_2)
	v_dual_add_nc_u32 v28, s19, v8 :: v_dual_add_nc_u32 v29, s22, v9
	v_dual_add_nc_u32 v30, v8, v6 :: v_dual_add_nc_u32 v31, v9, v5
	v_dual_add_nc_u32 v26, -2, v26 :: v_dual_add_nc_u32 v9, 4, v9
	s_delay_alu instid0(VALU_DEP_3) | instskip(NEXT) | instid1(VALU_DEP_4)
	v_mad_u32 v28, v28, s13, v4
	v_mad_u32 v29, v29, s16, v1
	v_add_nc_u32_e32 v8, 4, v8
	s_delay_alu instid0(VALU_DEP_4) | instskip(SKIP_1) | instid1(VALU_DEP_3)
	v_cmp_eq_u32_e32 vcc_lo, 0, v26
	s_or_b32 s35, vcc_lo, s35
	v_dual_cndmask_b32 v28, v28, v30, s0 :: v_dual_cndmask_b32 v29, v29, v31, s0
	s_clause 0x1
	global_load_b32 v30, v28, s[20:21] scale_offset
	global_load_b32 v31, v29, s[20:21] scale_offset
	s_wait_loadcnt 0x0
	ds_store_2addr_b32 v27, v30, v31 offset1:66
	v_add_nc_u32_e32 v27, 0x210, v27
	s_wait_xcnt 0x0
	s_and_not1_b32 exec_lo, exec_lo, s35
	s_cbranch_execnz .LBB4_194
; %bb.195:                              ;   in Loop: Header=BB4_191 Depth=2
	s_or_b32 exec_lo, exec_lo, s35
	s_mov_b32 s35, 0
	s_and_saveexec_b32 s36, s5
; %bb.196:                              ;   in Loop: Header=BB4_191 Depth=2
	s_mov_b32 s35, exec_lo
; %bb.197:                              ;   in Loop: Header=BB4_191 Depth=2
	s_or_b32 exec_lo, exec_lo, s36
	v_dual_mov_b32 v1, v13 :: v_dual_mov_b32 v5, v20
	s_or_not1_b32 s35, s35, exec_lo
.LBB4_198:                              ;   in Loop: Header=BB4_191 Depth=2
	s_or_b32 exec_lo, exec_lo, s25
	s_delay_alu instid0(SALU_CYCLE_1)
	s_and_b32 exec_lo, exec_lo, s35
	s_cbranch_execz .LBB4_190
; %bb.199:                              ;   in Loop: Header=BB4_191 Depth=2
	v_add_nc_u32_e32 v5, v23, v5
	s_mov_b32 s25, 0
	s_branch .LBB4_201
.LBB4_200:                              ;   in Loop: Header=BB4_201 Depth=3
	global_load_b32 v6, v6, s[20:21] scale_offset
	v_add_nc_u32_e32 v1, 2, v1
	s_delay_alu instid0(VALU_DEP_1)
	v_cmp_le_i32_e32 vcc_lo, s13, v1
	s_or_b32 s25, vcc_lo, s25
	s_wait_loadcnt 0x0
	ds_store_b32 v5, v6
	v_add_nc_u32_e32 v5, 0x108, v5
	s_and_not1_b32 exec_lo, exec_lo, s25
	s_cbranch_execz .LBB4_190
.LBB4_201:                              ;   Parent Loop BB4_188 Depth=1
                                        ;     Parent Loop BB4_191 Depth=2
                                        ; =>    This Inner Loop Header: Depth=3
	s_and_b32 vcc_lo, exec_lo, s8
	s_mov_b32 s35, -1
                                        ; implicit-def: $vgpr6
	s_cbranch_vccz .LBB4_203
; %bb.202:                              ;   in Loop: Header=BB4_201 Depth=3
	v_add_nc_u32_e32 v6, s19, v1
	s_mov_b32 s35, 0
	s_delay_alu instid0(VALU_DEP_1)
	v_mad_u32 v6, v6, s13, v4
.LBB4_203:                              ;   in Loop: Header=BB4_201 Depth=3
	s_and_not1_b32 vcc_lo, exec_lo, s35
	s_cbranch_vccnz .LBB4_200
; %bb.204:                              ;   in Loop: Header=BB4_201 Depth=3
	v_add_nc_u32_e32 v6, v24, v1
	s_branch .LBB4_200
.LBB4_205:                              ;   in Loop: Header=BB4_188 Depth=1
	s_or_b32 exec_lo, exec_lo, s6
	s_delay_alu instid0(SALU_CYCLE_1)
	s_and_not1_b32 vcc_lo, exec_lo, s9
	s_wait_dscnt 0x0
	s_cbranch_vccnz .LBB4_229
; %bb.206:                              ;   in Loop: Header=BB4_188 Depth=1
	s_and_not1_b32 vcc_lo, exec_lo, s10
	s_mov_b32 s6, 0
	s_cbranch_vccnz .LBB4_220
; %bb.207:                              ;   in Loop: Header=BB4_188 Depth=1
	v_dual_mov_b32 v1, v21 :: v_dual_mov_b32 v4, v19
	v_dual_mov_b32 v5, v18 :: v_dual_mov_b32 v6, v17
	s_mov_b32 s19, 0
	s_branch .LBB4_209
.LBB4_208:                              ;   in Loop: Header=BB4_209 Depth=2
	s_or_b32 exec_lo, exec_lo, s22
	v_dual_add_nc_u32 v6, 8, v6 :: v_dual_add_nc_u32 v1, 8, v1
	v_add_nc_u32_e32 v5, 0x110, v5
	v_add_nc_u32_e32 v4, 0x110, v4
	s_add_co_i32 s19, s19, 2
	s_mov_b32 s6, s11
	s_cmp_eq_u32 s19, s11
	s_cbranch_scc1 .LBB4_220
.LBB4_209:                              ;   Parent Loop BB4_188 Depth=1
                                        ; =>  This Loop Header: Depth=2
                                        ;       Child Loop BB4_212 Depth 3
                                        ;         Child Loop BB4_214 Depth 4
                                        ;       Child Loop BB4_217 Depth 3
                                        ;         Child Loop BB4_219 Depth 4
	s_and_saveexec_b32 s22, s1
	s_cbranch_execz .LBB4_208
; %bb.210:                              ;   in Loop: Header=BB4_209 Depth=2
	v_dual_mov_b32 v9, v6 :: v_dual_add_nc_u32 v8, s19, v10
	v_mov_b32_e32 v23, v7
	s_lshl_b32 s23, s19, 2
	s_mov_b32 s24, 0
	s_addk_co_i32 s23, 0x1080
	v_cmp_gt_i32_e32 vcc_lo, s13, v8
	s_branch .LBB4_212
.LBB4_211:                              ;   in Loop: Header=BB4_212 Depth=3
	s_or_b32 exec_lo, exec_lo, s25
	v_add_nc_u32_e32 v23, 32, v23
	v_add_nc_u32_e32 v9, 0x1080, v9
	s_delay_alu instid0(VALU_DEP_2) | instskip(SKIP_1) | instid1(SALU_CYCLE_1)
	v_cmp_le_i32_e64 s6, s13, v23
	s_or_b32 s24, s6, s24
	s_and_not1_b32 exec_lo, exec_lo, s24
	s_cbranch_execz .LBB4_215
.LBB4_212:                              ;   Parent Loop BB4_188 Depth=1
                                        ;     Parent Loop BB4_209 Depth=2
                                        ; =>    This Loop Header: Depth=3
                                        ;         Child Loop BB4_214 Depth 4
	s_and_saveexec_b32 s25, vcc_lo
	s_cbranch_execz .LBB4_211
; %bb.213:                              ;   in Loop: Header=BB4_212 Depth=3
	v_mad_u32 v24, 0x84, v23, s23
	v_dual_mov_b32 v25, v5 :: v_dual_mov_b32 v26, v9
	v_mov_b32_e32 v27, v8
	s_mov_b32 s35, 0
.LBB4_214:                              ;   Parent Loop BB4_188 Depth=1
                                        ;     Parent Loop BB4_209 Depth=2
                                        ;       Parent Loop BB4_212 Depth=3
                                        ; =>      This Inner Loop Header: Depth=4
	ds_load_b32 v28, v25
	ds_load_b32 v29, v24
	;; [unrolled: 1-line block ×3, first 2 shown]
	v_dual_add_nc_u32 v27, 2, v27 :: v_dual_add_nc_u32 v25, 8, v25
	s_wait_dscnt 0x0
	v_fma_f32 v28, -v28, v29, v30
	s_delay_alu instid0(VALU_DEP_2) | instskip(SKIP_3) | instid1(SALU_CYCLE_1)
	v_cmp_le_i32_e64 s6, s13, v27
	ds_store_b32 v26, v28
	v_add_nc_u32_e32 v26, 8, v26
	s_or_b32 s35, s6, s35
	s_and_not1_b32 exec_lo, exec_lo, s35
	s_cbranch_execnz .LBB4_214
	s_branch .LBB4_211
.LBB4_215:                              ;   in Loop: Header=BB4_209 Depth=2
	s_or_b32 exec_lo, exec_lo, s24
	v_add3_u32 v8, v10, s19, 1
	v_dual_mov_b32 v9, v1 :: v_dual_mov_b32 v23, v7
	s_mov_b32 s24, 0
	s_delay_alu instid0(VALU_DEP_2)
	v_cmp_gt_i32_e32 vcc_lo, s13, v8
	s_branch .LBB4_217
.LBB4_216:                              ;   in Loop: Header=BB4_217 Depth=3
	s_or_b32 exec_lo, exec_lo, s25
	v_add_nc_u32_e32 v23, 32, v23
	v_add_nc_u32_e32 v9, 0x1080, v9
	s_delay_alu instid0(VALU_DEP_2) | instskip(SKIP_1) | instid1(SALU_CYCLE_1)
	v_cmp_le_i32_e64 s6, s13, v23
	s_or_b32 s24, s6, s24
	s_and_not1_b32 exec_lo, exec_lo, s24
	s_cbranch_execz .LBB4_208
.LBB4_217:                              ;   Parent Loop BB4_188 Depth=1
                                        ;     Parent Loop BB4_209 Depth=2
                                        ; =>    This Loop Header: Depth=3
                                        ;         Child Loop BB4_219 Depth 4
	s_and_saveexec_b32 s25, vcc_lo
	s_cbranch_execz .LBB4_216
; %bb.218:                              ;   in Loop: Header=BB4_217 Depth=3
	v_mad_u32 v24, 0x84, v23, s23
	v_dual_mov_b32 v25, v9 :: v_dual_mov_b32 v26, v4
	v_mov_b32_e32 v27, v8
	s_mov_b32 s35, 0
.LBB4_219:                              ;   Parent Loop BB4_188 Depth=1
                                        ;     Parent Loop BB4_209 Depth=2
                                        ;       Parent Loop BB4_217 Depth=3
                                        ; =>      This Inner Loop Header: Depth=4
	ds_load_b32 v28, v26
	ds_load_b32 v29, v24 offset:4
	ds_load_b32 v30, v25
	v_dual_add_nc_u32 v27, 2, v27 :: v_dual_add_nc_u32 v26, 8, v26
	s_wait_dscnt 0x0
	v_fma_f32 v28, -v28, v29, v30
	s_delay_alu instid0(VALU_DEP_2) | instskip(SKIP_3) | instid1(SALU_CYCLE_1)
	v_cmp_le_i32_e64 s6, s13, v27
	ds_store_b32 v25, v28
	v_add_nc_u32_e32 v25, 8, v25
	s_or_b32 s35, s6, s35
	s_and_not1_b32 exec_lo, exec_lo, s35
	s_cbranch_execnz .LBB4_219
	s_branch .LBB4_216
.LBB4_220:                              ;   in Loop: Header=BB4_188 Depth=1
	s_and_not1_b32 vcc_lo, exec_lo, s12
	s_mov_b32 s22, -1
	s_cbranch_vccnz .LBB4_230
; %bb.221:                              ;   in Loop: Header=BB4_188 Depth=1
	s_and_saveexec_b32 s19, s2
	s_delay_alu instid0(SALU_CYCLE_1)
	s_xor_b32 s19, exec_lo, s19
	s_cbranch_execz .LBB4_223
; %bb.222:                              ;   in Loop: Header=BB4_188 Depth=1
	s_wait_dscnt 0x0
.LBB4_223:                              ;   in Loop: Header=BB4_188 Depth=1
	s_or_saveexec_b32 s19, s19
	s_mov_b32 s22, 0
	s_xor_b32 exec_lo, exec_lo, s19
	s_cbranch_execz .LBB4_232
; %bb.224:                              ;   in Loop: Header=BB4_188 Depth=1
	v_mad_u32 v4, 0x88, s6, v18
	v_add_nc_u32_e32 v5, s6, v2
	v_dual_mov_b32 v6, v7 :: v_dual_add_nc_u32 v1, s6, v10
	s_lshl_b32 s23, s6, 2
	s_delay_alu instid0(VALU_DEP_2) | instskip(SKIP_1) | instid1(VALU_DEP_2)
	v_lshl_add_u32 v5, v5, 2, v22
	s_addk_co_i32 s23, 0x1080
	v_cmp_gt_i32_e32 vcc_lo, s13, v1
	s_branch .LBB4_226
.LBB4_225:                              ;   in Loop: Header=BB4_226 Depth=2
	s_or_b32 exec_lo, exec_lo, s24
	v_add_nc_u32_e32 v6, 32, v6
	v_add_nc_u32_e32 v5, 0x1080, v5
	s_delay_alu instid0(VALU_DEP_2) | instskip(SKIP_1) | instid1(SALU_CYCLE_1)
	v_cmp_le_i32_e64 s6, s13, v6
	s_or_b32 s22, s6, s22
	s_and_not1_b32 exec_lo, exec_lo, s22
	s_cbranch_execz .LBB4_231
.LBB4_226:                              ;   Parent Loop BB4_188 Depth=1
                                        ; =>  This Loop Header: Depth=2
                                        ;       Child Loop BB4_228 Depth 3
	s_and_saveexec_b32 s24, vcc_lo
	s_cbranch_execz .LBB4_225
; %bb.227:                              ;   in Loop: Header=BB4_226 Depth=2
	v_mad_u32 v8, 0x84, v6, s23
	v_dual_mov_b32 v9, v4 :: v_dual_mov_b32 v23, v5
	v_mov_b32_e32 v24, v1
	s_mov_b32 s25, 0
.LBB4_228:                              ;   Parent Loop BB4_188 Depth=1
                                        ;     Parent Loop BB4_226 Depth=2
                                        ; =>    This Inner Loop Header: Depth=3
	ds_load_b32 v25, v9
	ds_load_b32 v26, v8
	;; [unrolled: 1-line block ×3, first 2 shown]
	v_dual_add_nc_u32 v24, 2, v24 :: v_dual_add_nc_u32 v9, 8, v9
	s_wait_dscnt 0x0
	v_fma_f32 v25, -v25, v26, v27
	s_delay_alu instid0(VALU_DEP_2) | instskip(SKIP_3) | instid1(SALU_CYCLE_1)
	v_cmp_le_i32_e64 s6, s13, v24
	ds_store_b32 v23, v25
	v_add_nc_u32_e32 v23, 8, v23
	s_or_b32 s25, s6, s25
	s_and_not1_b32 exec_lo, exec_lo, s25
	s_cbranch_execnz .LBB4_228
	s_branch .LBB4_225
.LBB4_229:                              ;   in Loop: Header=BB4_188 Depth=1
	s_mov_b32 s22, -1
.LBB4_230:                              ;   in Loop: Header=BB4_188 Depth=1
	s_delay_alu instid0(SALU_CYCLE_1) | instskip(NEXT) | instid1(SALU_CYCLE_1)
	s_and_saveexec_b32 s6, s22
	s_xor_b32 s6, exec_lo, s6
	s_cbranch_execz .LBB4_187
	s_branch .LBB4_233
.LBB4_231:                              ;   in Loop: Header=BB4_188 Depth=1
	s_or_b32 exec_lo, exec_lo, s22
	s_delay_alu instid0(SALU_CYCLE_1)
	s_mov_b32 s22, exec_lo
.LBB4_232:                              ;   in Loop: Header=BB4_188 Depth=1
	s_or_b32 exec_lo, exec_lo, s19
	s_and_saveexec_b32 s6, s22
	s_delay_alu instid0(SALU_CYCLE_1)
	s_xor_b32 s6, exec_lo, s6
	s_cbranch_execz .LBB4_187
.LBB4_233:                              ;   in Loop: Header=BB4_188 Depth=1
	s_wait_dscnt 0x0
	s_and_saveexec_b32 s19, s1
	s_cbranch_execz .LBB4_186
; %bb.234:                              ;   in Loop: Header=BB4_188 Depth=1
	v_dual_mov_b32 v23, v11 :: v_dual_mov_b32 v24, v16
	v_dual_mov_b32 v25, v15 :: v_dual_mov_b32 v4, v7
	s_mul_i32 s22, s7, s13
	s_mov_b32 s24, 0
	s_mov_b32 s23, s22
	s_branch .LBB4_236
.LBB4_235:                              ;   in Loop: Header=BB4_236 Depth=2
	s_or_b32 exec_lo, exec_lo, s25
	v_add_nc_u32_e32 v4, 32, v4
	v_add_nc_u32_e32 v25, 0x80, v25
	;; [unrolled: 1-line block ×4, first 2 shown]
	s_delay_alu instid0(VALU_DEP_4) | instskip(SKIP_1) | instid1(SALU_CYCLE_1)
	v_cmp_le_i32_e32 vcc_lo, s13, v4
	s_or_b32 s24, vcc_lo, s24
	s_and_not1_b32 exec_lo, exec_lo, s24
	s_cbranch_execz .LBB4_186
.LBB4_236:                              ;   Parent Loop BB4_188 Depth=1
                                        ; =>  This Loop Header: Depth=2
                                        ;       Child Loop BB4_239 Depth 3
                                        ;       Child Loop BB4_246 Depth 3
	s_and_saveexec_b32 s25, s3
	s_cbranch_execz .LBB4_235
; %bb.237:                              ;   in Loop: Header=BB4_236 Depth=2
	v_dual_mov_b32 v1, v2 :: v_dual_mov_b32 v5, v14
	s_mov_b32 s36, -1
	s_and_saveexec_b32 s35, s4
	s_cbranch_execz .LBB4_243
; %bb.238:                              ;   in Loop: Header=BB4_236 Depth=2
	v_dual_mov_b32 v26, v12 :: v_dual_add_nc_u32 v1, s22, v4
	v_mov_b64_e32 v[8:9], v[2:3]
	s_mov_b32 s36, 0
	v_mov_b32_e32 v27, v25
	s_delay_alu instid0(VALU_DEP_3) | instskip(NEXT) | instid1(VALU_DEP_1)
	v_mul_lo_u32 v6, v1, s13
	v_dual_mov_b32 v1, v4 :: v_dual_mov_b32 v5, v6
.LBB4_239:                              ;   Parent Loop BB4_188 Depth=1
                                        ;     Parent Loop BB4_236 Depth=2
                                        ; =>    This Inner Loop Header: Depth=3
	s_delay_alu instid0(VALU_DEP_4)
	v_dual_add_nc_u32 v30, s23, v9 :: v_dual_add_nc_u32 v31, s22, v8
	ds_load_2addr_b32 v[28:29], v27 offset1:66
	v_dual_add_nc_u32 v26, -2, v26 :: v_dual_add_nc_u32 v33, v9, v5
	v_mad_u32 v30, v30, s16, v1
	v_mad_u32 v31, v31, s13, v4
	v_dual_add_nc_u32 v32, v8, v6 :: v_dual_add_nc_u32 v9, 4, v9
	s_delay_alu instid0(VALU_DEP_4)
	v_cmp_eq_u32_e32 vcc_lo, 0, v26
	v_add_nc_u32_e32 v8, 4, v8
	v_add_nc_u32_e32 v27, 0x210, v27
	s_or_b32 s36, vcc_lo, s36
	v_dual_cndmask_b32 v30, v30, v33, s0 :: v_dual_cndmask_b32 v31, v31, v32, s0
	s_wait_dscnt 0x0
	s_clause 0x1
	global_store_b32 v31, v28, s[20:21] scale_offset
	global_store_b32 v30, v29, s[20:21] scale_offset
	s_wait_xcnt 0x0
	s_and_not1_b32 exec_lo, exec_lo, s36
	s_cbranch_execnz .LBB4_239
; %bb.240:                              ;   in Loop: Header=BB4_236 Depth=2
	s_or_b32 exec_lo, exec_lo, s36
	s_mov_b32 s36, 0
	s_and_saveexec_b32 s37, s5
; %bb.241:                              ;   in Loop: Header=BB4_236 Depth=2
	s_mov_b32 s36, exec_lo
; %bb.242:                              ;   in Loop: Header=BB4_236 Depth=2
	s_or_b32 exec_lo, exec_lo, s37
	v_dual_mov_b32 v1, v13 :: v_dual_mov_b32 v5, v20
	s_or_not1_b32 s36, s36, exec_lo
.LBB4_243:                              ;   in Loop: Header=BB4_236 Depth=2
	s_or_b32 exec_lo, exec_lo, s35
	s_delay_alu instid0(SALU_CYCLE_1)
	s_and_b32 exec_lo, exec_lo, s36
	s_cbranch_execz .LBB4_235
; %bb.244:                              ;   in Loop: Header=BB4_236 Depth=2
	v_add_nc_u32_e32 v5, v23, v5
	s_mov_b32 s35, 0
	s_branch .LBB4_246
.LBB4_245:                              ;   in Loop: Header=BB4_246 Depth=3
	v_add_nc_u32_e32 v1, 2, v1
	v_add_nc_u32_e32 v5, 0x108, v5
	s_wait_dscnt 0x0
	global_store_b32 v8, v6, s[20:21] scale_offset
	v_cmp_le_i32_e32 vcc_lo, s13, v1
	s_or_b32 s35, vcc_lo, s35
	s_wait_xcnt 0x0
	s_and_not1_b32 exec_lo, exec_lo, s35
	s_cbranch_execz .LBB4_235
.LBB4_246:                              ;   Parent Loop BB4_188 Depth=1
                                        ;     Parent Loop BB4_236 Depth=2
                                        ; =>    This Inner Loop Header: Depth=3
	ds_load_b32 v6, v5
	s_and_b32 vcc_lo, exec_lo, s8
	s_mov_b32 s36, -1
                                        ; implicit-def: $vgpr8
	s_cbranch_vccz .LBB4_248
; %bb.247:                              ;   in Loop: Header=BB4_246 Depth=3
	v_add_nc_u32_e32 v8, s22, v1
	s_mov_b32 s36, 0
	s_delay_alu instid0(VALU_DEP_1)
	v_mad_u32 v8, v8, s13, v4
.LBB4_248:                              ;   in Loop: Header=BB4_246 Depth=3
	s_and_not1_b32 vcc_lo, exec_lo, s36
	s_cbranch_vccnz .LBB4_245
; %bb.249:                              ;   in Loop: Header=BB4_246 Depth=3
	v_add_nc_u32_e32 v8, v24, v1
	s_branch .LBB4_245
.LBB4_250:
	v_and_b32_e32 v0, 0xfffff, v0
	s_mov_b32 s0, exec_lo
	s_delay_alu instid0(VALU_DEP_1)
	v_cmpx_eq_u32_e32 0, v0
	s_cbranch_execz .LBB4_254
; %bb.251:
	v_dual_mov_b32 v0, 0 :: v_dual_mov_b32 v1, 1
	s_add_nc_u64 s[0:1], s[28:29], s[30:31]
	s_and_not1_b32 vcc_lo, exec_lo, s33
	global_wb scope:SCOPE_DEV
	s_wait_storecnt 0x0
	s_wait_loadcnt_dscnt 0x0
	global_store_b32 v0, v1, s[0:1] scope:SCOPE_DEV
	s_cbranch_vccnz .LBB4_254
; %bb.252:
	s_wait_xcnt 0x0
	v_mbcnt_lo_u32_b32 v0, exec_lo, 0
	s_delay_alu instid0(VALU_DEP_1)
	v_cmp_eq_u32_e32 vcc_lo, 0, v0
	s_and_b32 exec_lo, exec_lo, vcc_lo
	s_cbranch_execz .LBB4_254
; %bb.253:
	s_add_co_i32 s0, s34, s14
	s_delay_alu instid0(SALU_CYCLE_1)
	v_dual_mov_b32 v0, 0 :: v_dual_mov_b32 v1, s0
	global_atomic_min_i32 v0, v1, s[26:27] scope:SCOPE_DEV
.LBB4_254:
	s_endpgm
	.section	.rodata,"a",@progbits
	.p2align	6, 0x0
	.amdhsa_kernel _ZN9rocsparseL12bsrilu0_9_32ILj64ELj64ELj32EfEEv20rocsparse_direction_iPKiS3_PT2_S3_iPiS3_S6_21rocsparse_index_base_imNS_24const_host_device_scalarIfEENS8_IdEENS8_IS4_EEb
		.amdhsa_group_segment_fixed_size 8448
		.amdhsa_private_segment_fixed_size 0
		.amdhsa_kernarg_size 116
		.amdhsa_user_sgpr_count 2
		.amdhsa_user_sgpr_dispatch_ptr 0
		.amdhsa_user_sgpr_queue_ptr 0
		.amdhsa_user_sgpr_kernarg_segment_ptr 1
		.amdhsa_user_sgpr_dispatch_id 0
		.amdhsa_user_sgpr_kernarg_preload_length 0
		.amdhsa_user_sgpr_kernarg_preload_offset 0
		.amdhsa_user_sgpr_private_segment_size 0
		.amdhsa_wavefront_size32 1
		.amdhsa_uses_dynamic_stack 0
		.amdhsa_enable_private_segment 0
		.amdhsa_system_sgpr_workgroup_id_x 1
		.amdhsa_system_sgpr_workgroup_id_y 0
		.amdhsa_system_sgpr_workgroup_id_z 0
		.amdhsa_system_sgpr_workgroup_info 0
		.amdhsa_system_vgpr_workitem_id 1
		.amdhsa_next_free_vgpr 81
		.amdhsa_next_free_sgpr 59
		.amdhsa_named_barrier_count 0
		.amdhsa_reserve_vcc 1
		.amdhsa_float_round_mode_32 0
		.amdhsa_float_round_mode_16_64 0
		.amdhsa_float_denorm_mode_32 3
		.amdhsa_float_denorm_mode_16_64 3
		.amdhsa_fp16_overflow 0
		.amdhsa_memory_ordered 1
		.amdhsa_forward_progress 1
		.amdhsa_inst_pref_size 68
		.amdhsa_round_robin_scheduling 0
		.amdhsa_exception_fp_ieee_invalid_op 0
		.amdhsa_exception_fp_denorm_src 0
		.amdhsa_exception_fp_ieee_div_zero 0
		.amdhsa_exception_fp_ieee_overflow 0
		.amdhsa_exception_fp_ieee_underflow 0
		.amdhsa_exception_fp_ieee_inexact 0
		.amdhsa_exception_int_div_zero 0
	.end_amdhsa_kernel
	.section	.text._ZN9rocsparseL12bsrilu0_9_32ILj64ELj64ELj32EfEEv20rocsparse_direction_iPKiS3_PT2_S3_iPiS3_S6_21rocsparse_index_base_imNS_24const_host_device_scalarIfEENS8_IdEENS8_IS4_EEb,"axG",@progbits,_ZN9rocsparseL12bsrilu0_9_32ILj64ELj64ELj32EfEEv20rocsparse_direction_iPKiS3_PT2_S3_iPiS3_S6_21rocsparse_index_base_imNS_24const_host_device_scalarIfEENS8_IdEENS8_IS4_EEb,comdat
.Lfunc_end4:
	.size	_ZN9rocsparseL12bsrilu0_9_32ILj64ELj64ELj32EfEEv20rocsparse_direction_iPKiS3_PT2_S3_iPiS3_S6_21rocsparse_index_base_imNS_24const_host_device_scalarIfEENS8_IdEENS8_IS4_EEb, .Lfunc_end4-_ZN9rocsparseL12bsrilu0_9_32ILj64ELj64ELj32EfEEv20rocsparse_direction_iPKiS3_PT2_S3_iPiS3_S6_21rocsparse_index_base_imNS_24const_host_device_scalarIfEENS8_IdEENS8_IS4_EEb
                                        ; -- End function
	.set _ZN9rocsparseL12bsrilu0_9_32ILj64ELj64ELj32EfEEv20rocsparse_direction_iPKiS3_PT2_S3_iPiS3_S6_21rocsparse_index_base_imNS_24const_host_device_scalarIfEENS8_IdEENS8_IS4_EEb.num_vgpr, 52
	.set _ZN9rocsparseL12bsrilu0_9_32ILj64ELj64ELj32EfEEv20rocsparse_direction_iPKiS3_PT2_S3_iPiS3_S6_21rocsparse_index_base_imNS_24const_host_device_scalarIfEENS8_IdEENS8_IS4_EEb.num_agpr, 0
	.set _ZN9rocsparseL12bsrilu0_9_32ILj64ELj64ELj32EfEEv20rocsparse_direction_iPKiS3_PT2_S3_iPiS3_S6_21rocsparse_index_base_imNS_24const_host_device_scalarIfEENS8_IdEENS8_IS4_EEb.numbered_sgpr, 59
	.set _ZN9rocsparseL12bsrilu0_9_32ILj64ELj64ELj32EfEEv20rocsparse_direction_iPKiS3_PT2_S3_iPiS3_S6_21rocsparse_index_base_imNS_24const_host_device_scalarIfEENS8_IdEENS8_IS4_EEb.num_named_barrier, 0
	.set _ZN9rocsparseL12bsrilu0_9_32ILj64ELj64ELj32EfEEv20rocsparse_direction_iPKiS3_PT2_S3_iPiS3_S6_21rocsparse_index_base_imNS_24const_host_device_scalarIfEENS8_IdEENS8_IS4_EEb.private_seg_size, 0
	.set _ZN9rocsparseL12bsrilu0_9_32ILj64ELj64ELj32EfEEv20rocsparse_direction_iPKiS3_PT2_S3_iPiS3_S6_21rocsparse_index_base_imNS_24const_host_device_scalarIfEENS8_IdEENS8_IS4_EEb.uses_vcc, 1
	.set _ZN9rocsparseL12bsrilu0_9_32ILj64ELj64ELj32EfEEv20rocsparse_direction_iPKiS3_PT2_S3_iPiS3_S6_21rocsparse_index_base_imNS_24const_host_device_scalarIfEENS8_IdEENS8_IS4_EEb.uses_flat_scratch, 0
	.set _ZN9rocsparseL12bsrilu0_9_32ILj64ELj64ELj32EfEEv20rocsparse_direction_iPKiS3_PT2_S3_iPiS3_S6_21rocsparse_index_base_imNS_24const_host_device_scalarIfEENS8_IdEENS8_IS4_EEb.has_dyn_sized_stack, 0
	.set _ZN9rocsparseL12bsrilu0_9_32ILj64ELj64ELj32EfEEv20rocsparse_direction_iPKiS3_PT2_S3_iPiS3_S6_21rocsparse_index_base_imNS_24const_host_device_scalarIfEENS8_IdEENS8_IS4_EEb.has_recursion, 0
	.set _ZN9rocsparseL12bsrilu0_9_32ILj64ELj64ELj32EfEEv20rocsparse_direction_iPKiS3_PT2_S3_iPiS3_S6_21rocsparse_index_base_imNS_24const_host_device_scalarIfEENS8_IdEENS8_IS4_EEb.has_indirect_call, 0
	.section	.AMDGPU.csdata,"",@progbits
; Kernel info:
; codeLenInByte = 8604
; TotalNumSgprs: 61
; NumVgprs: 52
; ScratchSize: 0
; MemoryBound: 0
; FloatMode: 240
; IeeeMode: 1
; LDSByteSize: 8448 bytes/workgroup (compile time only)
; SGPRBlocks: 0
; VGPRBlocks: 5
; NumSGPRsForWavesPerEU: 61
; NumVGPRsForWavesPerEU: 81
; NamedBarCnt: 0
; Occupancy: 10
; WaveLimiterHint : 1
; COMPUTE_PGM_RSRC2:SCRATCH_EN: 0
; COMPUTE_PGM_RSRC2:USER_SGPR: 2
; COMPUTE_PGM_RSRC2:TRAP_HANDLER: 0
; COMPUTE_PGM_RSRC2:TGID_X_EN: 1
; COMPUTE_PGM_RSRC2:TGID_Y_EN: 0
; COMPUTE_PGM_RSRC2:TGID_Z_EN: 0
; COMPUTE_PGM_RSRC2:TIDIG_COMP_CNT: 1
	.section	.text._ZN9rocsparseL13bsrilu0_33_64ILj64ELj64ELj64EfEEv20rocsparse_direction_iPKiS3_PT2_S3_iPiS3_S6_21rocsparse_index_base_imNS_24const_host_device_scalarIfEENS8_IdEENS8_IS4_EEb,"axG",@progbits,_ZN9rocsparseL13bsrilu0_33_64ILj64ELj64ELj64EfEEv20rocsparse_direction_iPKiS3_PT2_S3_iPiS3_S6_21rocsparse_index_base_imNS_24const_host_device_scalarIfEENS8_IdEENS8_IS4_EEb,comdat
	.globl	_ZN9rocsparseL13bsrilu0_33_64ILj64ELj64ELj64EfEEv20rocsparse_direction_iPKiS3_PT2_S3_iPiS3_S6_21rocsparse_index_base_imNS_24const_host_device_scalarIfEENS8_IdEENS8_IS4_EEb ; -- Begin function _ZN9rocsparseL13bsrilu0_33_64ILj64ELj64ELj64EfEEv20rocsparse_direction_iPKiS3_PT2_S3_iPiS3_S6_21rocsparse_index_base_imNS_24const_host_device_scalarIfEENS8_IdEENS8_IS4_EEb
	.p2align	8
	.type	_ZN9rocsparseL13bsrilu0_33_64ILj64ELj64ELj64EfEEv20rocsparse_direction_iPKiS3_PT2_S3_iPiS3_S6_21rocsparse_index_base_imNS_24const_host_device_scalarIfEENS8_IdEENS8_IS4_EEb,@function
_ZN9rocsparseL13bsrilu0_33_64ILj64ELj64ELj64EfEEv20rocsparse_direction_iPKiS3_PT2_S3_iPiS3_S6_21rocsparse_index_base_imNS_24const_host_device_scalarIfEENS8_IdEENS8_IS4_EEb: ; @_ZN9rocsparseL13bsrilu0_33_64ILj64ELj64ELj64EfEEv20rocsparse_direction_iPKiS3_PT2_S3_iPiS3_S6_21rocsparse_index_base_imNS_24const_host_device_scalarIfEENS8_IdEENS8_IS4_EEb
; %bb.0:
	s_clause 0x2
	s_load_b32 s2, s[0:1], 0x70
	s_load_b64 s[10:11], s[0:1], 0x48
	s_load_b256 s[20:27], s[0:1], 0x50
	s_wait_kmcnt 0x0
	s_bitcmp1_b32 s2, 0
	s_cselect_b32 s2, -1, 0
	s_cmp_eq_u32 s11, 0
	s_cselect_b32 s4, -1, 0
	s_cmp_lg_u32 s11, 0
	s_cselect_b32 s36, -1, 0
	s_or_b32 s6, s4, s2
	s_delay_alu instid0(SALU_CYCLE_1)
	s_xor_b32 s5, s6, -1
	s_and_b32 s2, s4, exec_lo
	s_cselect_b32 s3, 0, s25
	s_cselect_b32 s2, 0, s24
	;; [unrolled: 1-line block ×3, first 2 shown]
	s_and_b32 vcc_lo, exec_lo, s6
	s_cbranch_vccnz .LBB5_2
; %bb.1:
	s_load_b32 s38, s[22:23], 0x0
	s_mov_b64 s[2:3], s[24:25]
.LBB5_2:
	s_delay_alu instid0(SALU_CYCLE_1)
	v_mov_b64_e32 v[2:3], s[2:3]
	v_cndmask_b32_e64 v1, 0, 1, s5
	s_and_not1_b32 vcc_lo, exec_lo, s5
	s_cbranch_vccnz .LBB5_4
; %bb.3:
	v_mov_b32_e32 v2, 0
	flat_load_b64 v[2:3], v2, s[24:25]
.LBB5_4:
	s_delay_alu instid0(VALU_DEP_1)
	v_cmp_ne_u32_e32 vcc_lo, 1, v1
	s_and_b32 s2, s4, exec_lo
	s_cselect_b32 s37, 0, s26
	s_cbranch_vccnz .LBB5_6
; %bb.5:
	s_load_b32 s37, s[26:27], 0x0
.LBB5_6:
	s_wait_xcnt 0x0
	s_load_b128 s[24:27], s[0:1], 0x30
	s_bfe_u32 s2, ttmp6, 0x4000c
	s_and_b32 s3, ttmp6, 15
	s_add_co_i32 s2, s2, 1
	s_getreg_b32 s4, hwreg(HW_REG_IB_STS2, 6, 4)
	s_mul_i32 s2, ttmp9, s2
	s_delay_alu instid0(SALU_CYCLE_1)
	s_add_co_i32 s3, s3, s2
	s_cmp_eq_u32 s4, 0
	s_cselect_b32 s2, ttmp9, s3
	s_load_b64 s[22:23], s[0:1], 0x40
	s_wait_kmcnt 0x0
	s_load_b32 s28, s[26:27], s2 offset:0x0 scale_offset
	s_load_b256 s[12:19], s[0:1], 0x8
	s_wait_kmcnt 0x0
	s_ashr_i32 s29, s28, 31
	s_delay_alu instid0(SALU_CYCLE_1) | instskip(NEXT) | instid1(SALU_CYCLE_1)
	s_lshl_b64 s[26:27], s[28:29], 2
	s_add_nc_u64 s[2:3], s[18:19], s[26:27]
	s_load_b32 s33, s[2:3], 0x0
	s_wait_kmcnt 0x0
	s_cmp_eq_u32 s33, -1
	s_cbranch_scc1 .LBB5_121
; %bb.7:
	s_add_nc_u64 s[2:3], s[12:13], s[26:27]
	s_mov_b32 s9, 0
	s_load_b64 s[4:5], s[2:3], 0x0
	s_clause 0x1
	s_load_b64 s[30:31], s[0:1], 0x0
	s_load_b32 s11, s[0:1], 0x28
	s_wait_kmcnt 0x0
	s_sub_co_i32 s39, s4, s10
	s_sub_co_i32 s29, s5, s10
	s_cmp_ge_i32 s39, s33
	s_cbranch_scc1 .LBB5_103
; %bb.8:
	v_and_b32_e32 v11, 0x3ff, v0
	v_bfe_u32 v4, v0, 10, 10
	s_cmp_lg_u32 s30, 0
	v_mov_b32_e32 v24, 0
	s_cselect_b32 s40, -1, 0
	v_mad_u32 v8, s11, s39, v11
	v_lshl_or_b32 v1, v4, 6, v11
	s_cmp_eq_u32 s30, 0
	v_cmp_gt_i32_e64 s0, s11, v11
	v_cmp_le_i32_e64 s1, s11, v11
	v_cmp_gt_i32_e64 s2, s11, v4
	v_dual_add_nc_u32 v6, s39, v1 :: v_dual_sub_nc_u32 v1, s11, v4
	v_add_nc_u32_e32 v5, 1, v4
	v_cmp_eq_u32_e64 s4, 0, v4
	v_lshlrev_b32_e32 v18, 2, v11
	v_mul_lo_u32 v16, s11, v8
	v_dual_ashrrev_i32 v7, 31, v6 :: v_dual_bitop2_b32 v13, -2, v1 bitop3:0x40
	v_cmp_gt_i32_e64 s5, s29, v6
	v_cmp_lt_u32_e64 s6, 1, v1
	v_mul_u32_u24_e32 v19, 0x104, v4
	s_delay_alu instid0(VALU_DEP_4)
	v_add_nc_u32_e32 v17, v4, v13
	v_lshl_add_u64 v[8:9], v[6:7], 2, s[14:15]
	v_cmp_ne_u32_e64 s7, v1, v13
	v_mad_u32_u24 v21, 0x104, v4, v18
	v_mad_u32_u24 v23, 0x104, v4, 0x104
	v_add_nc_u32_e32 v22, v5, v16
	v_mul_lo_u32 v20, 0x104, v17
	s_cselect_b32 s3, -1, 0
	s_cmp_gt_i32 s11, 0
	s_mov_b32 s42, 0
	s_cselect_b32 s41, -1, 0
	s_add_co_i32 s31, s31, 1
	s_mov_b32 s43, s11
	s_lshl_b32 s44, s11, 6
	s_mul_i32 s45, s11, s11
.LBB5_9:                                ; =>This Loop Header: Depth=1
                                        ;     Child Loop BB5_11 Depth 2
                                        ;     Child Loop BB5_15 Depth 2
                                        ;       Child Loop BB5_18 Depth 3
                                        ;       Child Loop BB5_25 Depth 3
                                        ;     Child Loop BB5_32 Depth 2
                                        ;       Child Loop BB5_35 Depth 3
                                        ;         Child Loop BB5_48 Depth 4
                                        ;     Child Loop BB5_57 Depth 2
                                        ;       Child Loop BB5_62 Depth 3
                                        ;       Child Loop BB5_71 Depth 3
                                        ;         Child Loop BB5_74 Depth 4
                                        ;         Child Loop BB5_81 Depth 4
                                        ;       Child Loop BB5_87 Depth 3
                                        ;         Child Loop BB5_90 Depth 4
                                        ;           Child Loop BB5_92 Depth 5
	s_wait_xcnt 0x0
	v_mov_b32_e32 v1, s39
	s_mov_b32 s9, -1
	global_load_b32 v1, v1, s[14:15] scale_offset
	s_wait_loadcnt 0x0
	v_readfirstlane_b32 s8, v1
	s_sub_co_i32 s34, s8, s10
	s_wait_xcnt 0x0
	v_mov_b32_e32 v1, s34
	global_load_b32 v1, v1, s[18:19] scale_offset
	s_wait_loadcnt 0x0
	v_cmp_eq_u32_e32 vcc_lo, -1, v1
	v_readfirstlane_b32 s46, v1
	v_cmp_ne_u32_e64 s8, -1, v1
	s_cbranch_vccnz .LBB5_101
; %bb.10:                               ;   in Loop: Header=BB5_9 Depth=1
	s_ashr_i32 s35, s34, 31
	s_delay_alu instid0(SALU_CYCLE_1) | instskip(NEXT) | instid1(SALU_CYCLE_1)
	s_lshl_b64 s[34:35], s[34:35], 2
	s_add_nc_u64 s[48:49], s[12:13], s[34:35]
	s_add_nc_u64 s[34:35], s[24:25], s[34:35]
	global_load_b32 v1, v24, s[48:49] offset:4
	s_wait_loadcnt 0x0
	v_readfirstlane_b32 s47, v1
.LBB5_11:                               ;   Parent Loop BB5_9 Depth=1
                                        ; =>  This Inner Loop Header: Depth=2
	global_load_b32 v1, v24, s[34:35] scope:SCOPE_DEV
	s_wait_loadcnt 0x0
	v_cmp_eq_u32_e32 vcc_lo, 0, v1
	s_cbranch_vccnz .LBB5_11
; %bb.12:                               ;   in Loop: Header=BB5_9 Depth=1
	s_wait_dscnt 0x0
	global_inv scope:SCOPE_DEV
	s_wait_xcnt 0x0
	s_and_saveexec_b32 s9, s0
	s_cbranch_execz .LBB5_29
; %bb.13:                               ;   in Loop: Header=BB5_9 Depth=1
	s_mul_i32 s34, s46, s11
	v_dual_mov_b32 v27, v21 :: v_dual_mov_b32 v10, v11
	v_dual_mov_b32 v26, v18 :: v_dual_add_nc_u32 v1, s34, v11
	s_mov_b32 s35, s34
	s_mov_b32 s48, 0
	s_delay_alu instid0(VALU_DEP_1)
	v_mul_lo_u32 v25, s11, v1
	s_branch .LBB5_15
.LBB5_14:                               ;   in Loop: Header=BB5_15 Depth=2
	s_or_b32 exec_lo, exec_lo, s49
	s_delay_alu instid0(VALU_DEP_1) | instskip(SKIP_2) | instid1(VALU_DEP_3)
	v_dual_add_nc_u32 v10, 64, v10 :: v_dual_add_nc_u32 v25, s44, v25
	v_add_nc_u32_e32 v27, 0x100, v27
	v_add_nc_u32_e32 v26, 0x100, v26
	v_cmp_le_i32_e32 vcc_lo, s11, v10
	s_or_b32 s48, vcc_lo, s48
	s_delay_alu instid0(SALU_CYCLE_1)
	s_and_not1_b32 exec_lo, exec_lo, s48
	s_cbranch_execz .LBB5_29
.LBB5_15:                               ;   Parent Loop BB5_9 Depth=1
                                        ; =>  This Loop Header: Depth=2
                                        ;       Child Loop BB5_18 Depth 3
                                        ;       Child Loop BB5_25 Depth 3
	s_and_saveexec_b32 s49, s2
	s_cbranch_execz .LBB5_14
; %bb.16:                               ;   in Loop: Header=BB5_15 Depth=2
	v_dual_mov_b32 v1, v4 :: v_dual_mov_b32 v7, v19
	s_mov_b32 s51, -1
	s_and_saveexec_b32 s50, s6
	s_cbranch_execz .LBB5_22
; %bb.17:                               ;   in Loop: Header=BB5_15 Depth=2
	v_dual_mov_b32 v28, v27 :: v_dual_add_nc_u32 v1, s34, v10
	v_mov_b64_e32 v[14:15], v[4:5]
	s_mov_b32 s51, 0
	v_mov_b32_e32 v29, v13
	s_delay_alu instid0(VALU_DEP_3) | instskip(NEXT) | instid1(VALU_DEP_1)
	v_mul_lo_u32 v12, v1, s11
	v_dual_mov_b32 v1, v10 :: v_dual_mov_b32 v7, v12
.LBB5_18:                               ;   Parent Loop BB5_9 Depth=1
                                        ;     Parent Loop BB5_15 Depth=2
                                        ; =>    This Inner Loop Header: Depth=3
	s_delay_alu instid0(VALU_DEP_4) | instskip(NEXT) | instid1(VALU_DEP_2)
	v_dual_add_nc_u32 v30, s34, v14 :: v_dual_add_nc_u32 v31, s35, v15
	v_dual_add_nc_u32 v32, v14, v12 :: v_dual_add_nc_u32 v33, v15, v7
	v_dual_add_nc_u32 v29, -2, v29 :: v_dual_add_nc_u32 v15, 2, v15
	s_delay_alu instid0(VALU_DEP_3) | instskip(NEXT) | instid1(VALU_DEP_4)
	v_mad_u32 v30, v30, s11, v10
	v_mad_u32 v31, v31, s43, v1
	v_add_nc_u32_e32 v14, 2, v14
	s_delay_alu instid0(VALU_DEP_4) | instskip(SKIP_1) | instid1(VALU_DEP_3)
	v_cmp_eq_u32_e32 vcc_lo, 0, v29
	s_or_b32 s51, vcc_lo, s51
	v_dual_cndmask_b32 v30, v30, v32, s3 :: v_dual_cndmask_b32 v31, v31, v33, s3
	s_clause 0x1
	global_load_b32 v32, v30, s[16:17] scale_offset
	global_load_b32 v33, v31, s[16:17] scale_offset
	s_wait_loadcnt 0x0
	ds_store_2addr_b32 v28, v32, v33 offset1:65
	v_add_nc_u32_e32 v28, 0x208, v28
	s_wait_xcnt 0x0
	s_and_not1_b32 exec_lo, exec_lo, s51
	s_cbranch_execnz .LBB5_18
; %bb.19:                               ;   in Loop: Header=BB5_15 Depth=2
	s_or_b32 exec_lo, exec_lo, s51
	s_mov_b32 s51, 0
	s_and_saveexec_b32 s52, s7
; %bb.20:                               ;   in Loop: Header=BB5_15 Depth=2
	s_mov_b32 s51, exec_lo
; %bb.21:                               ;   in Loop: Header=BB5_15 Depth=2
	s_or_b32 exec_lo, exec_lo, s52
	v_dual_mov_b32 v1, v17 :: v_dual_mov_b32 v7, v20
	s_or_not1_b32 s51, s51, exec_lo
.LBB5_22:                               ;   in Loop: Header=BB5_15 Depth=2
	s_or_b32 exec_lo, exec_lo, s50
	s_delay_alu instid0(SALU_CYCLE_1)
	s_and_b32 exec_lo, exec_lo, s51
	s_cbranch_execz .LBB5_14
; %bb.23:                               ;   in Loop: Header=BB5_15 Depth=2
	v_add_nc_u32_e32 v7, v26, v7
	s_mov_b32 s50, 0
	s_branch .LBB5_25
.LBB5_24:                               ;   in Loop: Header=BB5_25 Depth=3
	global_load_b32 v12, v12, s[16:17] scale_offset
	v_add_nc_u32_e32 v1, 1, v1
	s_delay_alu instid0(VALU_DEP_1)
	v_cmp_le_i32_e32 vcc_lo, s11, v1
	s_or_b32 s50, vcc_lo, s50
	s_wait_loadcnt 0x0
	ds_store_b32 v7, v12
	v_add_nc_u32_e32 v7, 0x104, v7
	s_wait_xcnt 0x0
	s_and_not1_b32 exec_lo, exec_lo, s50
	s_cbranch_execz .LBB5_14
.LBB5_25:                               ;   Parent Loop BB5_9 Depth=1
                                        ;     Parent Loop BB5_15 Depth=2
                                        ; =>    This Inner Loop Header: Depth=3
	s_and_b32 vcc_lo, exec_lo, s40
	s_mov_b32 s51, -1
                                        ; implicit-def: $vgpr12
	s_cbranch_vccz .LBB5_27
; %bb.26:                               ;   in Loop: Header=BB5_25 Depth=3
	v_add_nc_u32_e32 v12, s34, v1
	s_mov_b32 s51, 0
	s_delay_alu instid0(VALU_DEP_1)
	v_mad_u32 v12, v12, s11, v10
.LBB5_27:                               ;   in Loop: Header=BB5_25 Depth=3
	s_and_not1_b32 vcc_lo, exec_lo, s51
	s_cbranch_vccnz .LBB5_24
; %bb.28:                               ;   in Loop: Header=BB5_25 Depth=3
	v_add_nc_u32_e32 v12, v25, v1
	s_branch .LBB5_24
.LBB5_29:                               ;   in Loop: Header=BB5_9 Depth=1
	s_or_b32 exec_lo, exec_lo, s9
	s_delay_alu instid0(SALU_CYCLE_1)
	s_and_not1_b32 vcc_lo, exec_lo, s41
	s_mul_i32 s34, s39, s11
	s_wait_loadcnt_dscnt 0x0
	s_cbranch_vccnz .LBB5_52
; %bb.30:                               ;   in Loop: Header=BB5_9 Depth=1
	v_dual_mov_b32 v1, v23 :: v_dual_mov_b32 v7, v22
	s_mov_b32 s35, 0
	s_branch .LBB5_32
.LBB5_31:                               ;   in Loop: Header=BB5_32 Depth=2
	s_or_b32 exec_lo, exec_lo, s48
	v_add_nc_u32_e32 v7, 1, v7
	v_add_nc_u32_e32 v1, 0x108, v1
	s_add_co_i32 s35, s35, 1
	s_delay_alu instid0(SALU_CYCLE_1)
	s_cmp_eq_u32 s35, s11
	s_cbranch_scc1 .LBB5_52
.LBB5_32:                               ;   Parent Loop BB5_9 Depth=1
                                        ; =>  This Loop Header: Depth=2
                                        ;       Child Loop BB5_35 Depth 3
                                        ;         Child Loop BB5_48 Depth 4
	s_and_saveexec_b32 s48, s0
	s_cbranch_execz .LBB5_31
; %bb.33:                               ;   in Loop: Header=BB5_32 Depth=2
	s_mul_i32 s9, s35, 0x104
	s_lshl_b32 s49, s35, 2
	v_dual_mov_b32 v14, v7 :: v_dual_mov_b32 v15, v11
	s_add_co_i32 s9, s9, s49
	s_delay_alu instid0(SALU_CYCLE_1) | instskip(SKIP_3) | instid1(VALU_DEP_1)
	v_dual_add_nc_u32 v12, s35, v5 :: v_dual_mov_b32 v10, s9
	s_add_co_i32 s49, s35, s34
	s_mov_b32 s50, 0
	s_mul_i32 s49, s49, s11
	v_cmp_gt_i32_e64 s9, s11, v12
	ds_load_b32 v10, v10
	s_branch .LBB5_35
.LBB5_34:                               ;   in Loop: Header=BB5_35 Depth=3
	s_or_b32 exec_lo, exec_lo, s51
	v_dual_add_nc_u32 v15, 64, v15 :: v_dual_add_nc_u32 v14, s44, v14
	s_delay_alu instid0(VALU_DEP_1) | instskip(SKIP_1) | instid1(SALU_CYCLE_1)
	v_cmp_le_i32_e32 vcc_lo, s11, v15
	s_or_b32 s50, vcc_lo, s50
	s_and_not1_b32 exec_lo, exec_lo, s50
	s_cbranch_execz .LBB5_31
.LBB5_35:                               ;   Parent Loop BB5_9 Depth=1
                                        ;     Parent Loop BB5_32 Depth=2
                                        ; =>    This Loop Header: Depth=3
                                        ;         Child Loop BB5_48 Depth 4
	s_and_b32 vcc_lo, exec_lo, s40
	s_mov_b32 s51, -1
                                        ; implicit-def: $vgpr25
	s_cbranch_vccz .LBB5_37
; %bb.36:                               ;   in Loop: Header=BB5_35 Depth=3
	v_add_nc_u32_e32 v25, s49, v15
	s_mov_b32 s51, 0
.LBB5_37:                               ;   in Loop: Header=BB5_35 Depth=3
	s_delay_alu instid0(SALU_CYCLE_1)
	s_and_not1_b32 vcc_lo, exec_lo, s51
	s_cbranch_vccnz .LBB5_39
; %bb.38:                               ;   in Loop: Header=BB5_35 Depth=3
	v_add_nc_u32_e32 v25, s34, v15
	s_delay_alu instid0(VALU_DEP_1)
	v_mad_u32 v25, v25, s11, s35
.LBB5_39:                               ;   in Loop: Header=BB5_35 Depth=3
	global_load_b32 v25, v25, s[16:17] scale_offset
	s_wait_loadcnt_dscnt 0x0
	v_div_scale_f32 v26, null, v10, v10, v25
	s_delay_alu instid0(VALU_DEP_1) | instskip(SKIP_1) | instid1(TRANS32_DEP_1)
	v_rcp_f32_e32 v27, v26
	v_nop
	v_fma_f32 v28, -v26, v27, 1.0
	s_delay_alu instid0(VALU_DEP_1) | instskip(SKIP_1) | instid1(VALU_DEP_1)
	v_fmac_f32_e32 v27, v28, v27
	v_div_scale_f32 v28, vcc_lo, v25, v10, v25
	v_mul_f32_e32 v29, v28, v27
	s_delay_alu instid0(VALU_DEP_1) | instskip(NEXT) | instid1(VALU_DEP_1)
	v_fma_f32 v30, -v26, v29, v28
	v_fmac_f32_e32 v29, v30, v27
	s_delay_alu instid0(VALU_DEP_1) | instskip(NEXT) | instid1(VALU_DEP_1)
	v_fma_f32 v26, -v26, v29, v28
	v_div_fmas_f32 v26, v26, v27, v29
	s_wait_xcnt 0x0
	s_delay_alu instid0(VALU_DEP_1)
	v_div_fixup_f32 v25, v26, v10, v25
	s_and_saveexec_b32 s51, s4
	s_cbranch_execz .LBB5_45
; %bb.40:                               ;   in Loop: Header=BB5_35 Depth=3
	s_and_b32 vcc_lo, exec_lo, s40
	s_mov_b32 s52, -1
                                        ; implicit-def: $vgpr26
	s_cbranch_vccz .LBB5_42
; %bb.41:                               ;   in Loop: Header=BB5_35 Depth=3
	v_add_nc_u32_e32 v26, s49, v15
	s_mov_b32 s52, 0
.LBB5_42:                               ;   in Loop: Header=BB5_35 Depth=3
	s_delay_alu instid0(SALU_CYCLE_1)
	s_and_not1_b32 vcc_lo, exec_lo, s52
	s_cbranch_vccnz .LBB5_44
; %bb.43:                               ;   in Loop: Header=BB5_35 Depth=3
	v_add_nc_u32_e32 v26, s34, v15
	s_delay_alu instid0(VALU_DEP_1)
	v_mad_u32 v26, v26, s11, s35
.LBB5_44:                               ;   in Loop: Header=BB5_35 Depth=3
	global_store_b32 v26, v25, s[16:17] scale_offset
.LBB5_45:                               ;   in Loop: Header=BB5_35 Depth=3
	s_wait_xcnt 0x0
	s_or_b32 exec_lo, exec_lo, s51
	s_and_saveexec_b32 s51, s9
	s_cbranch_execz .LBB5_34
; %bb.46:                               ;   in Loop: Header=BB5_35 Depth=3
	v_dual_mov_b32 v26, v1 :: v_dual_mov_b32 v27, v14
	v_mov_b32_e32 v28, v12
	s_mov_b32 s52, 0
	s_branch .LBB5_48
.LBB5_47:                               ;   in Loop: Header=BB5_48 Depth=4
	s_wait_loadcnt_dscnt 0x0
	v_dual_add_nc_u32 v28, 1, v28 :: v_dual_fma_f32 v29, -v25, v29, v31
	v_add_nc_u32_e32 v27, 1, v27
	v_add_nc_u32_e32 v26, 0x104, v26
	s_delay_alu instid0(VALU_DEP_3)
	v_cmp_le_i32_e32 vcc_lo, s11, v28
	global_store_b32 v32, v29, s[16:17] scale_offset
	s_or_b32 s52, vcc_lo, s52
	s_wait_xcnt 0x0
	s_and_not1_b32 exec_lo, exec_lo, s52
	s_cbranch_execz .LBB5_34
.LBB5_48:                               ;   Parent Loop BB5_9 Depth=1
                                        ;     Parent Loop BB5_32 Depth=2
                                        ;       Parent Loop BB5_35 Depth=3
                                        ; =>      This Inner Loop Header: Depth=4
	ds_load_b32 v29, v26
	v_dual_mov_b32 v32, v27 :: v_dual_add_nc_u32 v31, s34, v28
	s_and_not1_b32 vcc_lo, exec_lo, s40
	s_delay_alu instid0(VALU_DEP_1)
	v_mad_u32 v30, v31, s11, v15
	s_cbranch_vccnz .LBB5_50
; %bb.49:                               ;   in Loop: Header=BB5_48 Depth=4
	v_mad_u32 v32, v31, s11, v15
.LBB5_50:                               ;   in Loop: Header=BB5_48 Depth=4
	global_load_b32 v31, v32, s[16:17] scale_offset
	s_wait_xcnt 0x0
	v_mov_b32_e32 v32, v27
	s_and_not1_b32 vcc_lo, exec_lo, s40
	s_cbranch_vccnz .LBB5_47
; %bb.51:                               ;   in Loop: Header=BB5_48 Depth=4
	v_mov_b32_e32 v32, v30
	s_branch .LBB5_47
.LBB5_52:                               ;   in Loop: Header=BB5_9 Depth=1
	s_sub_co_i32 s9, s47, s10
	s_add_co_i32 s35, s46, 1
	s_wait_storecnt 0x0
	s_cmp_ge_i32 s35, s9
	s_cbranch_scc1 .LBB5_100
; %bb.53:                               ;   in Loop: Header=BB5_9 Depth=1
	v_mad_u32 v1, s11, s35, v11
	s_delay_alu instid0(VALU_DEP_1)
	v_mul_lo_u32 v25, s11, v1
	s_branch .LBB5_57
.LBB5_54:                               ;   in Loop: Header=BB5_57 Depth=2
	s_or_b32 exec_lo, exec_lo, s47
.LBB5_55:                               ;   in Loop: Header=BB5_57 Depth=2
	s_delay_alu instid0(SALU_CYCLE_1)
	s_or_b32 exec_lo, exec_lo, s46
.LBB5_56:                               ;   in Loop: Header=BB5_57 Depth=2
	v_add_nc_u32_e32 v25, s45, v25
	s_add_co_i32 s35, s35, 1
	s_delay_alu instid0(SALU_CYCLE_1)
	s_cmp_lt_i32 s35, s9
	s_cbranch_scc0 .LBB5_100
.LBB5_57:                               ;   Parent Loop BB5_9 Depth=1
                                        ; =>  This Loop Header: Depth=2
                                        ;       Child Loop BB5_62 Depth 3
                                        ;       Child Loop BB5_71 Depth 3
                                        ;         Child Loop BB5_74 Depth 4
                                        ;         Child Loop BB5_81 Depth 4
                                        ;       Child Loop BB5_87 Depth 3
                                        ;         Child Loop BB5_90 Depth 4
                                        ;           Child Loop BB5_92 Depth 5
	v_dual_mov_b32 v1, s35 :: v_dual_mov_b32 v7, s31
	global_load_b32 v1, v1, s[14:15] scale_offset
	s_wait_xcnt 0x0
	s_and_saveexec_b32 s46, s5
	s_cbranch_execz .LBB5_59
; %bb.58:                               ;   in Loop: Header=BB5_57 Depth=2
	global_load_b32 v7, v[8:9], off
	s_wait_loadcnt 0x0
	v_subrev_nc_u32_e32 v7, s10, v7
.LBB5_59:                               ;   in Loop: Header=BB5_57 Depth=2
	s_wait_xcnt 0x0
	s_or_b32 exec_lo, exec_lo, s46
	s_wait_loadcnt 0x0
	v_subrev_nc_u32_e32 v1, s10, v1
	v_mov_b32_e32 v10, v6
	s_mov_b32 s46, exec_lo
	s_delay_alu instid0(VALU_DEP_2)
	v_cmpx_lt_i32_e64 v7, v1
	s_cbranch_execz .LBB5_65
; %bb.60:                               ;   in Loop: Header=BB5_57 Depth=2
	v_mov_b32_e32 v12, v6
	s_mov_b32 s47, 0
	s_branch .LBB5_62
.LBB5_61:                               ;   in Loop: Header=BB5_62 Depth=3
	s_wait_xcnt 0x0
	s_or_b32 exec_lo, exec_lo, s48
	s_delay_alu instid0(VALU_DEP_1) | instskip(SKIP_2) | instid1(SALU_CYCLE_1)
	v_cmp_ge_i32_e32 vcc_lo, v7, v1
	v_mov_b32_e32 v12, v10
	s_or_b32 s47, vcc_lo, s47
	s_and_not1_b32 exec_lo, exec_lo, s47
	s_cbranch_execz .LBB5_64
.LBB5_62:                               ;   Parent Loop BB5_9 Depth=1
                                        ;     Parent Loop BB5_57 Depth=2
                                        ; =>    This Inner Loop Header: Depth=3
	s_delay_alu instid0(VALU_DEP_1) | instskip(SKIP_1) | instid1(VALU_DEP_1)
	v_dual_mov_b32 v7, s31 :: v_dual_add_nc_u32 v10, 64, v12
	s_mov_b32 s48, exec_lo
	v_cmpx_gt_i32_e64 s29, v10
	s_cbranch_execz .LBB5_61
; %bb.63:                               ;   in Loop: Header=BB5_62 Depth=3
	global_load_b32 v7, v12, s[14:15] offset:256 scale_offset
	s_wait_loadcnt 0x0
	v_subrev_nc_u32_e32 v7, s10, v7
	s_branch .LBB5_61
.LBB5_64:                               ;   in Loop: Header=BB5_57 Depth=2
	s_or_b32 exec_lo, exec_lo, s47
.LBB5_65:                               ;   in Loop: Header=BB5_57 Depth=2
	s_delay_alu instid0(SALU_CYCLE_1)
	s_or_b32 exec_lo, exec_lo, s46
	v_cmp_eq_u32_e32 vcc_lo, v7, v1
	s_cbranch_vccz .LBB5_56
; %bb.66:                               ;   in Loop: Header=BB5_57 Depth=2
	s_ctz_i32_b32 s46, vcc_lo
	s_delay_alu instid0(SALU_CYCLE_1) | instskip(NEXT) | instid1(SALU_CYCLE_1)
	s_lshl_b32 s46, s46, 2
	v_mov_b32_e32 v1, s46
	s_wait_dscnt 0x0
	ds_bpermute_b32 v26, v1, v10
	s_and_saveexec_b32 s46, s1
	s_delay_alu instid0(SALU_CYCLE_1)
	s_xor_b32 s46, exec_lo, s46
	s_cbranch_execz .LBB5_68
; %bb.67:                               ;   in Loop: Header=BB5_57 Depth=2
	s_wait_dscnt 0x0
                                        ; implicit-def: $vgpr26
.LBB5_68:                               ;   in Loop: Header=BB5_57 Depth=2
	s_and_not1_saveexec_b32 s46, s46
	s_cbranch_execz .LBB5_55
; %bb.69:                               ;   in Loop: Header=BB5_57 Depth=2
	v_dual_mov_b32 v27, v18 :: v_dual_mov_b32 v28, v25
	v_dual_mov_b32 v29, v21 :: v_dual_mov_b32 v10, v11
	s_mul_i32 s47, s35, s11
	s_mov_b32 s48, 0
	s_mov_b32 s49, s47
	s_branch .LBB5_71
.LBB5_70:                               ;   in Loop: Header=BB5_71 Depth=3
	s_or_b32 exec_lo, exec_lo, s50
	v_dual_add_nc_u32 v10, 64, v10 :: v_dual_add_nc_u32 v28, s44, v28
	v_add_nc_u32_e32 v29, 0x100, v29
	v_add_nc_u32_e32 v27, 0x100, v27
	s_delay_alu instid0(VALU_DEP_3) | instskip(SKIP_1) | instid1(SALU_CYCLE_1)
	v_cmp_le_i32_e32 vcc_lo, s11, v10
	s_or_b32 s48, vcc_lo, s48
	s_and_not1_b32 exec_lo, exec_lo, s48
	s_cbranch_execz .LBB5_85
.LBB5_71:                               ;   Parent Loop BB5_9 Depth=1
                                        ;     Parent Loop BB5_57 Depth=2
                                        ; =>    This Loop Header: Depth=3
                                        ;         Child Loop BB5_74 Depth 4
                                        ;         Child Loop BB5_81 Depth 4
	s_and_saveexec_b32 s50, s2
	s_cbranch_execz .LBB5_70
; %bb.72:                               ;   in Loop: Header=BB5_71 Depth=3
	v_dual_mov_b32 v1, v4 :: v_dual_mov_b32 v7, v19
	s_mov_b32 s52, -1
	s_and_saveexec_b32 s51, s6
	s_cbranch_execz .LBB5_78
; %bb.73:                               ;   in Loop: Header=BB5_71 Depth=3
	v_dual_mov_b32 v30, v29 :: v_dual_add_nc_u32 v1, s47, v10
	v_mov_b64_e32 v[14:15], v[4:5]
	s_mov_b32 s52, 0
	v_mov_b32_e32 v31, v13
	s_delay_alu instid0(VALU_DEP_3) | instskip(NEXT) | instid1(VALU_DEP_1)
	v_mul_lo_u32 v12, v1, s11
	v_dual_mov_b32 v1, v10 :: v_dual_mov_b32 v7, v12
.LBB5_74:                               ;   Parent Loop BB5_9 Depth=1
                                        ;     Parent Loop BB5_57 Depth=2
                                        ;       Parent Loop BB5_71 Depth=3
                                        ; =>      This Inner Loop Header: Depth=4
	s_delay_alu instid0(VALU_DEP_4) | instskip(NEXT) | instid1(VALU_DEP_2)
	v_dual_add_nc_u32 v32, s47, v14 :: v_dual_add_nc_u32 v33, s49, v15
	v_dual_add_nc_u32 v34, v14, v12 :: v_dual_add_nc_u32 v35, v15, v7
	v_dual_add_nc_u32 v31, -2, v31 :: v_dual_add_nc_u32 v14, 2, v14
	s_delay_alu instid0(VALU_DEP_3) | instskip(NEXT) | instid1(VALU_DEP_4)
	v_mad_u32 v32, v32, s11, v10
	v_mad_u32 v33, v33, s43, v1
	v_add_nc_u32_e32 v15, 2, v15
	s_delay_alu instid0(VALU_DEP_4) | instskip(SKIP_1) | instid1(VALU_DEP_3)
	v_cmp_eq_u32_e32 vcc_lo, 0, v31
	s_or_b32 s52, vcc_lo, s52
	v_dual_cndmask_b32 v32, v32, v34, s3 :: v_dual_cndmask_b32 v33, v33, v35, s3
	s_clause 0x1
	global_load_b32 v34, v32, s[16:17] scale_offset
	global_load_b32 v35, v33, s[16:17] scale_offset
	s_wait_loadcnt 0x0
	ds_store_2addr_b32 v30, v34, v35 offset1:65
	v_add_nc_u32_e32 v30, 0x208, v30
	s_wait_xcnt 0x0
	s_and_not1_b32 exec_lo, exec_lo, s52
	s_cbranch_execnz .LBB5_74
; %bb.75:                               ;   in Loop: Header=BB5_71 Depth=3
	s_or_b32 exec_lo, exec_lo, s52
	s_mov_b32 s52, 0
	s_and_saveexec_b32 s53, s7
; %bb.76:                               ;   in Loop: Header=BB5_71 Depth=3
	s_mov_b32 s52, exec_lo
; %bb.77:                               ;   in Loop: Header=BB5_71 Depth=3
	s_or_b32 exec_lo, exec_lo, s53
	v_dual_mov_b32 v1, v17 :: v_dual_mov_b32 v7, v20
	s_or_not1_b32 s52, s52, exec_lo
.LBB5_78:                               ;   in Loop: Header=BB5_71 Depth=3
	s_or_b32 exec_lo, exec_lo, s51
	s_delay_alu instid0(SALU_CYCLE_1)
	s_and_b32 exec_lo, exec_lo, s52
	s_cbranch_execz .LBB5_70
; %bb.79:                               ;   in Loop: Header=BB5_71 Depth=3
	v_add_nc_u32_e32 v7, v27, v7
	s_mov_b32 s51, 0
	s_branch .LBB5_81
.LBB5_80:                               ;   in Loop: Header=BB5_81 Depth=4
	global_load_b32 v12, v12, s[16:17] scale_offset
	v_add_nc_u32_e32 v1, 1, v1
	s_delay_alu instid0(VALU_DEP_1)
	v_cmp_le_i32_e32 vcc_lo, s11, v1
	s_or_b32 s51, vcc_lo, s51
	s_wait_loadcnt 0x0
	ds_store_b32 v7, v12
	v_add_nc_u32_e32 v7, 0x104, v7
	s_wait_xcnt 0x0
	s_and_not1_b32 exec_lo, exec_lo, s51
	s_cbranch_execz .LBB5_70
.LBB5_81:                               ;   Parent Loop BB5_9 Depth=1
                                        ;     Parent Loop BB5_57 Depth=2
                                        ;       Parent Loop BB5_71 Depth=3
                                        ; =>      This Inner Loop Header: Depth=4
	s_and_b32 vcc_lo, exec_lo, s40
	s_mov_b32 s52, -1
                                        ; implicit-def: $vgpr12
	s_cbranch_vccz .LBB5_83
; %bb.82:                               ;   in Loop: Header=BB5_81 Depth=4
	v_add_nc_u32_e32 v12, s47, v1
	s_mov_b32 s52, 0
	s_delay_alu instid0(VALU_DEP_1)
	v_mad_u32 v12, v12, s11, v10
.LBB5_83:                               ;   in Loop: Header=BB5_81 Depth=4
	s_and_not1_b32 vcc_lo, exec_lo, s52
	s_cbranch_vccnz .LBB5_80
; %bb.84:                               ;   in Loop: Header=BB5_81 Depth=4
	v_add_nc_u32_e32 v12, v28, v1
	s_branch .LBB5_80
.LBB5_85:                               ;   in Loop: Header=BB5_57 Depth=2
	s_or_b32 exec_lo, exec_lo, s48
	s_wait_dscnt 0x0
	v_mul_lo_u32 v1, v26, s11
	v_dual_mov_b32 v7, v16 :: v_dual_mov_b32 v10, v11
	s_mov_b32 s47, 0
	s_branch .LBB5_87
.LBB5_86:                               ;   in Loop: Header=BB5_87 Depth=3
	s_or_b32 exec_lo, exec_lo, s48
	v_dual_add_nc_u32 v10, 64, v10 :: v_dual_add_nc_u32 v7, s44, v7
	s_delay_alu instid0(VALU_DEP_1) | instskip(SKIP_1) | instid1(SALU_CYCLE_1)
	v_cmp_le_i32_e32 vcc_lo, s11, v10
	s_or_b32 s47, vcc_lo, s47
	s_and_not1_b32 exec_lo, exec_lo, s47
	s_cbranch_execz .LBB5_54
.LBB5_87:                               ;   Parent Loop BB5_9 Depth=1
                                        ;     Parent Loop BB5_57 Depth=2
                                        ; =>    This Loop Header: Depth=3
                                        ;         Child Loop BB5_90 Depth 4
                                        ;           Child Loop BB5_92 Depth 5
	s_and_saveexec_b32 s48, s2
	s_cbranch_execz .LBB5_86
; %bb.88:                               ;   in Loop: Header=BB5_87 Depth=3
	s_delay_alu instid0(VALU_DEP_2) | instskip(SKIP_2) | instid1(VALU_DEP_2)
	v_dual_add_nc_u32 v12, v10, v1 :: v_dual_mov_b32 v14, v19
	v_mov_b32_e32 v15, v4
	s_mov_b32 s49, 0
	v_mul_lo_u32 v12, v12, s11
	s_branch .LBB5_90
.LBB5_89:                               ;   in Loop: Header=BB5_90 Depth=4
	global_load_b32 v28, v27, s[16:17] scale_offset
	v_add_nc_u32_e32 v15, 1, v15
	v_add_nc_u32_e32 v14, 0x104, v14
	s_wait_loadcnt 0x0
	v_sub_f32_e32 v26, v28, v26
	s_delay_alu instid0(VALU_DEP_3)
	v_cmp_le_i32_e32 vcc_lo, s11, v15
	global_store_b32 v27, v26, s[16:17] scale_offset
	s_or_b32 s49, vcc_lo, s49
	s_wait_xcnt 0x0
	s_and_not1_b32 exec_lo, exec_lo, s49
	s_cbranch_execz .LBB5_86
.LBB5_90:                               ;   Parent Loop BB5_9 Depth=1
                                        ;     Parent Loop BB5_57 Depth=2
                                        ;       Parent Loop BB5_87 Depth=3
                                        ; =>      This Loop Header: Depth=4
                                        ;           Child Loop BB5_92 Depth 5
	v_dual_mov_b32 v26, 0 :: v_dual_mov_b32 v27, v14
	s_mov_b32 s50, 0
	s_branch .LBB5_92
.LBB5_91:                               ;   in Loop: Header=BB5_92 Depth=5
	global_load_b32 v28, v28, s[16:17] scale_offset
	ds_load_b32 v29, v27
	s_add_co_i32 s50, s50, 1
	v_add_nc_u32_e32 v27, 4, v27
	s_cmp_eq_u32 s11, s50
	s_wait_loadcnt_dscnt 0x0
	v_fmac_f32_e32 v26, v28, v29
	s_cbranch_scc1 .LBB5_96
.LBB5_92:                               ;   Parent Loop BB5_9 Depth=1
                                        ;     Parent Loop BB5_57 Depth=2
                                        ;       Parent Loop BB5_87 Depth=3
                                        ;         Parent Loop BB5_90 Depth=4
                                        ; =>        This Inner Loop Header: Depth=5
	s_and_b32 vcc_lo, exec_lo, s40
	s_mov_b32 s51, -1
                                        ; implicit-def: $vgpr28
	s_cbranch_vccz .LBB5_94
; %bb.93:                               ;   in Loop: Header=BB5_92 Depth=5
	s_add_co_i32 s51, s50, s34
	s_wait_xcnt 0x0
	v_mad_u32 v28, s51, s11, v10
	s_mov_b32 s51, 0
.LBB5_94:                               ;   in Loop: Header=BB5_92 Depth=5
	s_delay_alu instid0(SALU_CYCLE_1)
	s_and_not1_b32 vcc_lo, exec_lo, s51
	s_cbranch_vccnz .LBB5_91
; %bb.95:                               ;   in Loop: Header=BB5_92 Depth=5
	s_wait_xcnt 0x0
	v_add_nc_u32_e32 v28, s50, v7
	s_branch .LBB5_91
.LBB5_96:                               ;   in Loop: Header=BB5_90 Depth=4
	s_and_b32 vcc_lo, exec_lo, s40
	s_mov_b32 s50, -1
                                        ; implicit-def: $vgpr27
	s_cbranch_vccz .LBB5_98
; %bb.97:                               ;   in Loop: Header=BB5_90 Depth=4
	v_add_nc_u32_e32 v27, v15, v1
	s_mov_b32 s50, 0
	s_delay_alu instid0(VALU_DEP_1)
	v_mad_u32 v27, v27, s11, v10
.LBB5_98:                               ;   in Loop: Header=BB5_90 Depth=4
	s_and_not1_b32 vcc_lo, exec_lo, s50
	s_cbranch_vccnz .LBB5_89
; %bb.99:                               ;   in Loop: Header=BB5_90 Depth=4
	v_add_nc_u32_e32 v27, v15, v12
	s_branch .LBB5_89
.LBB5_100:                              ;   in Loop: Header=BB5_9 Depth=1
	s_mov_b32 s9, s42
.LBB5_101:                              ;   in Loop: Header=BB5_9 Depth=1
	s_add_co_i32 s39, s39, 1
	v_dual_add_nc_u32 v22, s45, v22 :: v_dual_add_nc_u32 v16, s45, v16
	s_cmp_lt_i32 s39, s33
	s_cselect_b32 s34, -1, 0
	s_delay_alu instid0(SALU_CYCLE_1) | instskip(NEXT) | instid1(SALU_CYCLE_1)
	s_and_b32 s8, s8, s34
	s_and_b32 vcc_lo, exec_lo, s8
	s_cbranch_vccz .LBB5_103
; %bb.102:                              ;   in Loop: Header=BB5_9 Depth=1
	s_mov_b32 s42, s9
	s_branch .LBB5_9
.LBB5_103:
	s_wait_xcnt 0x0
	v_mov_b32_e32 v1, s33
	s_wait_storecnt 0x0
	s_wait_loadcnt_dscnt 0x0
	global_load_b32 v1, v1, s[14:15] scale_offset
	s_wait_loadcnt 0x0
	s_wait_xcnt 0x0
	v_subrev_nc_u32_e32 v1, s10, v1
	s_delay_alu instid0(VALU_DEP_1)
	v_cmp_ne_u32_e32 vcc_lo, s28, v1
	s_cbranch_vccnz .LBB5_162
; %bb.104:
	v_and_b32_e32 v4, 0x3ff, v0
	s_delay_alu instid0(VALU_DEP_1)
	v_cmp_gt_i32_e64 s0, s11, v4
	v_lshlrev_b32_e32 v11, 2, v4
	s_and_saveexec_b32 s5, s0
	s_cbranch_execz .LBB5_122
; %bb.105:
	v_bfe_u32 v6, v0, 10, 10
	s_mul_i32 s7, s33, s11
	s_cmp_lg_u32 s30, 0
	v_mov_b32_e32 v8, v4
	s_cselect_b32 s6, -1, 0
	v_dual_sub_nc_u32 v1, s11, v6 :: v_dual_add_nc_u32 v5, s7, v4
	v_cmp_gt_u32_e64 s1, s11, v6
	v_mul_u32_u24_e32 v18, 0x104, v6
	s_cmp_eq_u32 s30, 0
	v_dual_lshlrev_b32 v15, 2, v4 :: v_dual_bitop2_b32 v9, -2, v1 bitop3:0x40
	v_mul_lo_u32 v16, s11, v5
	v_cmp_lt_u32_e64 s3, 1, v1
	s_mov_b32 s8, 0
	v_dual_add_nc_u32 v14, v6, v9 :: v_dual_add_nc_u32 v7, 1, v6
	v_cmp_ne_u32_e64 s4, v1, v9
	v_mad_u32_u24 v19, 0x104, v6, v15
	s_cselect_b32 s2, -1, 0
	v_mul_lo_u32 v17, 0x104, v14
	s_mov_b32 s12, s7
	s_mov_b32 s13, s11
	s_lshl_b32 s14, s11, 6
	s_branch .LBB5_107
.LBB5_106:                              ;   in Loop: Header=BB5_107 Depth=1
	s_or_b32 exec_lo, exec_lo, s15
	v_add_nc_u32_e32 v8, 64, v8
	v_add_nc_u32_e32 v19, 0x100, v19
	;; [unrolled: 1-line block ×4, first 2 shown]
	s_delay_alu instid0(VALU_DEP_4) | instskip(SKIP_1) | instid1(SALU_CYCLE_1)
	v_cmp_le_i32_e32 vcc_lo, s11, v8
	s_or_b32 s8, vcc_lo, s8
	s_and_not1_b32 exec_lo, exec_lo, s8
	s_cbranch_execz .LBB5_122
.LBB5_107:                              ; =>This Loop Header: Depth=1
                                        ;     Child Loop BB5_110 Depth 2
                                        ;     Child Loop BB5_117 Depth 2
	s_and_saveexec_b32 s15, s1
	s_cbranch_execz .LBB5_106
; %bb.108:                              ;   in Loop: Header=BB5_107 Depth=1
	v_dual_mov_b32 v1, v6 :: v_dual_mov_b32 v5, v18
	s_mov_b32 s19, -1
	s_and_saveexec_b32 s18, s3
	s_cbranch_execz .LBB5_114
; %bb.109:                              ;   in Loop: Header=BB5_107 Depth=1
	v_dual_mov_b32 v20, v19 :: v_dual_add_nc_u32 v1, s7, v8
	v_mov_b64_e32 v[12:13], v[6:7]
	s_mov_b32 s19, 0
	v_mov_b32_e32 v21, v9
	s_delay_alu instid0(VALU_DEP_3) | instskip(NEXT) | instid1(VALU_DEP_1)
	v_mul_lo_u32 v10, v1, s11
	v_dual_mov_b32 v1, v8 :: v_dual_mov_b32 v5, v10
.LBB5_110:                              ;   Parent Loop BB5_107 Depth=1
                                        ; =>  This Inner Loop Header: Depth=2
	s_delay_alu instid0(VALU_DEP_4) | instskip(NEXT) | instid1(VALU_DEP_2)
	v_dual_add_nc_u32 v22, s7, v12 :: v_dual_add_nc_u32 v23, s12, v13
	v_dual_add_nc_u32 v24, v12, v10 :: v_dual_add_nc_u32 v25, v13, v5
	v_dual_add_nc_u32 v21, -2, v21 :: v_dual_add_nc_u32 v12, 2, v12
	s_delay_alu instid0(VALU_DEP_3) | instskip(NEXT) | instid1(VALU_DEP_4)
	v_mad_u32 v22, v22, s11, v8
	v_mad_u32 v23, v23, s13, v1
	v_add_nc_u32_e32 v13, 2, v13
	s_delay_alu instid0(VALU_DEP_4) | instskip(SKIP_1) | instid1(VALU_DEP_3)
	v_cmp_eq_u32_e32 vcc_lo, 0, v21
	s_or_b32 s19, vcc_lo, s19
	v_dual_cndmask_b32 v22, v22, v24, s2 :: v_dual_cndmask_b32 v23, v23, v25, s2
	s_clause 0x1
	global_load_b32 v24, v22, s[16:17] scale_offset
	global_load_b32 v25, v23, s[16:17] scale_offset
	s_wait_loadcnt 0x0
	ds_store_2addr_b32 v20, v24, v25 offset1:65
	v_add_nc_u32_e32 v20, 0x208, v20
	s_wait_xcnt 0x0
	s_and_not1_b32 exec_lo, exec_lo, s19
	s_cbranch_execnz .LBB5_110
; %bb.111:                              ;   in Loop: Header=BB5_107 Depth=1
	s_or_b32 exec_lo, exec_lo, s19
	s_mov_b32 s19, 0
	s_and_saveexec_b32 s31, s4
; %bb.112:                              ;   in Loop: Header=BB5_107 Depth=1
	s_mov_b32 s19, exec_lo
; %bb.113:                              ;   in Loop: Header=BB5_107 Depth=1
	s_or_b32 exec_lo, exec_lo, s31
	v_dual_mov_b32 v1, v14 :: v_dual_mov_b32 v5, v17
	s_or_not1_b32 s19, s19, exec_lo
.LBB5_114:                              ;   in Loop: Header=BB5_107 Depth=1
	s_or_b32 exec_lo, exec_lo, s18
	s_delay_alu instid0(SALU_CYCLE_1)
	s_and_b32 exec_lo, exec_lo, s19
	s_cbranch_execz .LBB5_106
; %bb.115:                              ;   in Loop: Header=BB5_107 Depth=1
	v_add_nc_u32_e32 v5, v15, v5
	s_mov_b32 s18, 0
	s_branch .LBB5_117
.LBB5_116:                              ;   in Loop: Header=BB5_117 Depth=2
	global_load_b32 v10, v10, s[16:17] scale_offset
	v_add_nc_u32_e32 v1, 1, v1
	s_delay_alu instid0(VALU_DEP_1)
	v_cmp_le_i32_e32 vcc_lo, s11, v1
	s_or_b32 s18, vcc_lo, s18
	s_wait_loadcnt 0x0
	ds_store_b32 v5, v10
	v_add_nc_u32_e32 v5, 0x104, v5
	s_and_not1_b32 exec_lo, exec_lo, s18
	s_cbranch_execz .LBB5_106
.LBB5_117:                              ;   Parent Loop BB5_107 Depth=1
                                        ; =>  This Inner Loop Header: Depth=2
	s_and_b32 vcc_lo, exec_lo, s6
	s_mov_b32 s19, -1
                                        ; implicit-def: $vgpr10
	s_cbranch_vccz .LBB5_119
; %bb.118:                              ;   in Loop: Header=BB5_117 Depth=2
	v_add_nc_u32_e32 v10, s7, v1
	s_mov_b32 s19, 0
	s_delay_alu instid0(VALU_DEP_1)
	v_mad_u32 v10, v10, s11, v8
.LBB5_119:                              ;   in Loop: Header=BB5_117 Depth=2
	s_and_not1_b32 vcc_lo, exec_lo, s19
	s_cbranch_vccnz .LBB5_116
; %bb.120:                              ;   in Loop: Header=BB5_117 Depth=2
	v_add_nc_u32_e32 v10, v16, v1
	s_branch .LBB5_116
.LBB5_121:
	s_mov_b32 s9, -1
	s_branch .LBB5_211
.LBB5_122:
	s_or_b32 exec_lo, exec_lo, s5
	s_cmp_lt_i32 s11, 1
	s_wait_dscnt 0x0
	s_cbranch_scc1 .LBB5_144
; %bb.123:
	v_cvt_f64_f32_e32 v[8:9], s38
	v_bfe_u32 v1, v0, 10, 10
	v_lshlrev_b32_e32 v6, 2, v4
	s_cmp_eq_u64 s[20:21], 8
	s_mov_b32 s4, 0
	s_cselect_b32 vcc_lo, -1, 0
	v_or_b32_e32 v7, v4, v1
	v_mul_u32_u24_e32 v10, 0x104, v1
	v_cmp_eq_u32_e64 s1, 0, v1
	v_mad_u32_u24 v5, 0x104, v1, 0x104
	s_delay_alu instid0(VALU_DEP_4) | instskip(NEXT) | instid1(VALU_DEP_4)
	v_cmp_eq_u32_e64 s2, 0, v7
	v_add3_u32 v6, v10, v6, 0x108
	v_dual_cndmask_b32 v3, v9, v3 :: v_dual_cndmask_b32 v2, v8, v2
.LBB5_124:                              ; =>This Loop Header: Depth=1
                                        ;     Child Loop BB5_136 Depth 2
                                        ;       Child Loop BB5_140 Depth 3
	s_mul_i32 s5, s4, 0x104
	s_lshl_b32 s3, s4, 2
	s_mov_b32 s8, -1
	s_add_co_i32 s7, s5, s3
	s_and_not1_b32 vcc_lo, exec_lo, s36
	v_mov_b32_e32 v7, s7
	s_mov_b32 s6, 0
	ds_load_b32 v7, v7
	s_wait_dscnt 0x0
	v_readfirstlane_b32 s3, v7
                                        ; implicit-def: $vgpr7
	s_cbranch_vccz .LBB5_129
; %bb.125:                              ;   in Loop: Header=BB5_124 Depth=1
	s_and_not1_b32 vcc_lo, exec_lo, s8
	s_mov_b32 s7, 0
	s_cbranch_vccz .LBB5_132
.LBB5_126:                              ;   in Loop: Header=BB5_124 Depth=1
	s_and_not1_b32 vcc_lo, exec_lo, s6
                                        ; implicit-def: $sgpr6
	s_cbranch_vccz .LBB5_133
.LBB5_127:                              ;   in Loop: Header=BB5_124 Depth=1
	s_and_not1_b32 vcc_lo, exec_lo, s7
	s_cbranch_vccz .LBB5_142
.LBB5_128:                              ;   in Loop: Header=BB5_124 Depth=1
	v_add_nc_u32_e32 v6, 0x108, v6
	v_add_nc_u32_e32 v5, 0x108, v5
	s_cmp_eq_u32 s6, s11
	s_cbranch_scc0 .LBB5_143
	s_branch .LBB5_144
.LBB5_129:                              ;   in Loop: Header=BB5_124 Depth=1
	s_xor_b32 s6, s3, 0x80000000
	s_cmp_lt_f32 s3, 0
	v_mov_b32_e32 v7, s37
	s_cselect_b32 s6, s6, s3
	s_delay_alu instid0(SALU_CYCLE_1) | instskip(NEXT) | instid1(VALU_DEP_1)
	v_cvt_f64_f32_e32 v[8:9], s6
	v_cmp_ge_f64_e32 vcc_lo, v[2:3], v[8:9]
	s_delay_alu instid0(VALU_DEP_3)
	v_cndmask_b32_e32 v7, s3, v7, vcc_lo
	s_and_saveexec_b32 s6, s2
; %bb.130:                              ;   in Loop: Header=BB5_124 Depth=1
	v_mov_b32_e32 v8, s7
	ds_store_b32 v8, v7
; %bb.131:                              ;   in Loop: Header=BB5_124 Depth=1
	s_or_b32 exec_lo, exec_lo, s6
	s_mov_b32 s6, -1
	s_mov_b32 s7, 0
	s_cbranch_execnz .LBB5_126
.LBB5_132:                              ;   in Loop: Header=BB5_124 Depth=1
	s_cmp_neq_f32 s3, 0
	v_mov_b32_e32 v7, s3
	s_mov_b32 s7, -1
	s_cselect_b32 s6, -1, 0
	s_delay_alu instid0(SALU_CYCLE_1)
	s_and_not1_b32 vcc_lo, exec_lo, s6
                                        ; implicit-def: $sgpr6
	s_cbranch_vccnz .LBB5_127
.LBB5_133:                              ;   in Loop: Header=BB5_124 Depth=1
	s_add_co_i32 s6, s4, 1
	s_mov_b32 s7, exec_lo
	v_add_nc_u32_e32 v8, s6, v4
	s_delay_alu instid0(VALU_DEP_1)
	v_cmpx_gt_i32_e64 s11, v8
	s_cbranch_execz .LBB5_141
; %bb.134:                              ;   in Loop: Header=BB5_124 Depth=1
	v_dual_mov_b32 v10, v6 :: v_dual_add_nc_u32 v9, s6, v1
	s_mov_b32 s8, 0
	s_delay_alu instid0(VALU_DEP_1)
	v_cmp_gt_i32_e64 s3, s11, v9
	s_branch .LBB5_136
.LBB5_135:                              ;   in Loop: Header=BB5_136 Depth=2
	s_or_b32 exec_lo, exec_lo, s12
	v_add_nc_u32_e32 v8, 64, v8
	v_add_nc_u32_e32 v10, 0x100, v10
	s_delay_alu instid0(VALU_DEP_2) | instskip(SKIP_1) | instid1(SALU_CYCLE_1)
	v_cmp_le_i32_e32 vcc_lo, s11, v8
	s_or_b32 s8, vcc_lo, s8
	s_and_not1_b32 exec_lo, exec_lo, s8
	s_cbranch_execz .LBB5_141
.LBB5_136:                              ;   Parent Loop BB5_124 Depth=1
                                        ; =>  This Loop Header: Depth=2
                                        ;       Child Loop BB5_140 Depth 3
	v_lshl_add_u32 v13, v8, 2, s5
	ds_load_b32 v12, v13
	s_wait_dscnt 0x0
	v_div_scale_f32 v14, null, v7, v7, v12
	s_delay_alu instid0(VALU_DEP_1) | instskip(SKIP_1) | instid1(TRANS32_DEP_1)
	v_rcp_f32_e32 v15, v14
	v_nop
	v_fma_f32 v16, -v14, v15, 1.0
	s_delay_alu instid0(VALU_DEP_1) | instskip(SKIP_1) | instid1(VALU_DEP_1)
	v_fmac_f32_e32 v15, v16, v15
	v_div_scale_f32 v16, vcc_lo, v12, v7, v12
	v_mul_f32_e32 v17, v16, v15
	s_delay_alu instid0(VALU_DEP_1) | instskip(NEXT) | instid1(VALU_DEP_1)
	v_fma_f32 v18, -v14, v17, v16
	v_fmac_f32_e32 v17, v18, v15
	s_delay_alu instid0(VALU_DEP_1) | instskip(NEXT) | instid1(VALU_DEP_1)
	v_fma_f32 v14, -v14, v17, v16
	v_div_fmas_f32 v14, v14, v15, v17
	s_delay_alu instid0(VALU_DEP_1)
	v_div_fixup_f32 v12, v14, v7, v12
	s_and_saveexec_b32 s12, s1
; %bb.137:                              ;   in Loop: Header=BB5_136 Depth=2
	ds_store_b32 v13, v12
; %bb.138:                              ;   in Loop: Header=BB5_136 Depth=2
	s_or_b32 exec_lo, exec_lo, s12
	s_and_saveexec_b32 s12, s3
	s_cbranch_execz .LBB5_135
; %bb.139:                              ;   in Loop: Header=BB5_136 Depth=2
	v_dual_mov_b32 v13, v5 :: v_dual_mov_b32 v14, v10
	v_mov_b32_e32 v15, v9
	s_mov_b32 s13, 0
.LBB5_140:                              ;   Parent Loop BB5_124 Depth=1
                                        ;     Parent Loop BB5_136 Depth=2
                                        ; =>    This Inner Loop Header: Depth=3
	ds_load_b32 v16, v13
	ds_load_b32 v17, v14
	v_add_nc_u32_e32 v15, 1, v15
	v_add_nc_u32_e32 v13, 0x104, v13
	s_wait_dscnt 0x0
	v_fma_f32 v16, -v12, v16, v17
	s_delay_alu instid0(VALU_DEP_3) | instskip(SKIP_3) | instid1(SALU_CYCLE_1)
	v_cmp_le_i32_e32 vcc_lo, s11, v15
	ds_store_b32 v14, v16
	v_add_nc_u32_e32 v14, 0x104, v14
	s_or_b32 s13, vcc_lo, s13
	s_and_not1_b32 exec_lo, exec_lo, s13
	s_cbranch_execnz .LBB5_140
	s_branch .LBB5_135
.LBB5_141:                              ;   in Loop: Header=BB5_124 Depth=1
	s_or_b32 exec_lo, exec_lo, s7
	s_cbranch_execnz .LBB5_128
.LBB5_142:                              ;   in Loop: Header=BB5_124 Depth=1
	s_add_co_i32 s6, s4, 1
	s_mov_b32 s9, -1
	v_add_nc_u32_e32 v6, 0x108, v6
	v_add_nc_u32_e32 v5, 0x108, v5
	s_cmp_eq_u32 s6, s11
	s_cbranch_scc1 .LBB5_144
.LBB5_143:                              ;   in Loop: Header=BB5_124 Depth=1
	s_mov_b32 s4, s6
	s_branch .LBB5_124
.LBB5_144:
	s_wait_dscnt 0x0
	s_and_saveexec_b32 s4, s0
	s_cbranch_execz .LBB5_161
; %bb.145:
	v_bfe_u32 v2, v0, 10, 10
	s_mul_i32 s5, s33, s11
	s_cmp_lg_u32 s30, 0
	s_mov_b32 s6, 0
	s_cselect_b32 s7, -1, 0
	v_dual_sub_nc_u32 v1, s11, v2 :: v_dual_add_nc_u32 v3, s5, v4
	v_cmp_gt_u32_e64 s0, s11, v2
	v_mul_u32_u24_e32 v14, 0x104, v2
	v_mad_u32_u24 v15, 0x104, v2, v11
	s_delay_alu instid0(VALU_DEP_4)
	v_and_b32_e32 v7, -2, v1
	v_mul_lo_u32 v12, s11, v3
	v_add_nc_u32_e32 v3, 1, v2
	v_cmp_lt_u32_e64 s2, 1, v1
	s_cmp_eq_u32 s30, 0
	v_add_nc_u32_e32 v10, v2, v7
	v_cmp_ne_u32_e64 s3, v1, v7
	s_cselect_b32 s1, -1, 0
	s_mov_b32 s8, s5
	s_mov_b32 s12, s11
	v_mul_lo_u32 v13, 0x104, v10
	s_lshl_b32 s13, s11, 6
	s_branch .LBB5_147
.LBB5_146:                              ;   in Loop: Header=BB5_147 Depth=1
	s_or_b32 exec_lo, exec_lo, s14
	v_add_nc_u32_e32 v4, 64, v4
	v_add_nc_u32_e32 v15, 0x100, v15
	;; [unrolled: 1-line block ×4, first 2 shown]
	s_delay_alu instid0(VALU_DEP_4) | instskip(SKIP_1) | instid1(SALU_CYCLE_1)
	v_cmp_le_i32_e32 vcc_lo, s11, v4
	s_or_b32 s6, vcc_lo, s6
	s_and_not1_b32 exec_lo, exec_lo, s6
	s_cbranch_execz .LBB5_161
.LBB5_147:                              ; =>This Loop Header: Depth=1
                                        ;     Child Loop BB5_150 Depth 2
                                        ;     Child Loop BB5_157 Depth 2
	s_and_saveexec_b32 s14, s0
	s_cbranch_execz .LBB5_146
; %bb.148:                              ;   in Loop: Header=BB5_147 Depth=1
	v_dual_mov_b32 v1, v2 :: v_dual_mov_b32 v5, v14
	s_mov_b32 s18, -1
	s_and_saveexec_b32 s15, s2
	s_cbranch_execz .LBB5_154
; %bb.149:                              ;   in Loop: Header=BB5_147 Depth=1
	v_dual_mov_b32 v16, v15 :: v_dual_add_nc_u32 v1, s5, v4
	v_mov_b64_e32 v[8:9], v[2:3]
	s_mov_b32 s18, 0
	v_mov_b32_e32 v17, v7
	s_delay_alu instid0(VALU_DEP_3) | instskip(NEXT) | instid1(VALU_DEP_1)
	v_mul_lo_u32 v6, v1, s11
	v_dual_mov_b32 v1, v4 :: v_dual_mov_b32 v5, v6
.LBB5_150:                              ;   Parent Loop BB5_147 Depth=1
                                        ; =>  This Inner Loop Header: Depth=2
	s_delay_alu instid0(VALU_DEP_4)
	v_dual_add_nc_u32 v20, s8, v9 :: v_dual_add_nc_u32 v21, s5, v8
	ds_load_2addr_b32 v[18:19], v16 offset1:65
	v_dual_add_nc_u32 v17, -2, v17 :: v_dual_add_nc_u32 v22, v8, v6
	v_mad_u32 v20, v20, s12, v1
	v_mad_u32 v21, v21, s11, v4
	v_dual_add_nc_u32 v23, v9, v5 :: v_dual_add_nc_u32 v8, 2, v8
	s_delay_alu instid0(VALU_DEP_4)
	v_cmp_eq_u32_e32 vcc_lo, 0, v17
	v_add_nc_u32_e32 v9, 2, v9
	v_add_nc_u32_e32 v16, 0x208, v16
	s_or_b32 s18, vcc_lo, s18
	v_dual_cndmask_b32 v20, v20, v23, s1 :: v_dual_cndmask_b32 v21, v21, v22, s1
	s_wait_dscnt 0x0
	s_clause 0x1
	global_store_b32 v21, v18, s[16:17] scale_offset
	global_store_b32 v20, v19, s[16:17] scale_offset
	s_wait_xcnt 0x0
	s_and_not1_b32 exec_lo, exec_lo, s18
	s_cbranch_execnz .LBB5_150
; %bb.151:                              ;   in Loop: Header=BB5_147 Depth=1
	s_or_b32 exec_lo, exec_lo, s18
	s_mov_b32 s18, 0
	s_and_saveexec_b32 s19, s3
; %bb.152:                              ;   in Loop: Header=BB5_147 Depth=1
	s_mov_b32 s18, exec_lo
; %bb.153:                              ;   in Loop: Header=BB5_147 Depth=1
	s_or_b32 exec_lo, exec_lo, s19
	v_dual_mov_b32 v1, v10 :: v_dual_mov_b32 v5, v13
	s_or_not1_b32 s18, s18, exec_lo
.LBB5_154:                              ;   in Loop: Header=BB5_147 Depth=1
	s_or_b32 exec_lo, exec_lo, s15
	s_delay_alu instid0(SALU_CYCLE_1)
	s_and_b32 exec_lo, exec_lo, s18
	s_cbranch_execz .LBB5_146
; %bb.155:                              ;   in Loop: Header=BB5_147 Depth=1
	v_add_nc_u32_e32 v5, v11, v5
	s_mov_b32 s15, 0
	s_branch .LBB5_157
.LBB5_156:                              ;   in Loop: Header=BB5_157 Depth=2
	v_add_nc_u32_e32 v1, 1, v1
	v_add_nc_u32_e32 v5, 0x104, v5
	s_wait_dscnt 0x0
	global_store_b32 v8, v6, s[16:17] scale_offset
	v_cmp_le_i32_e32 vcc_lo, s11, v1
	s_or_b32 s15, vcc_lo, s15
	s_wait_xcnt 0x0
	s_and_not1_b32 exec_lo, exec_lo, s15
	s_cbranch_execz .LBB5_146
.LBB5_157:                              ;   Parent Loop BB5_147 Depth=1
                                        ; =>  This Inner Loop Header: Depth=2
	ds_load_b32 v6, v5
	s_and_b32 vcc_lo, exec_lo, s7
	s_mov_b32 s18, -1
                                        ; implicit-def: $vgpr8
	s_cbranch_vccz .LBB5_159
; %bb.158:                              ;   in Loop: Header=BB5_157 Depth=2
	v_add_nc_u32_e32 v8, s5, v1
	s_mov_b32 s18, 0
	s_delay_alu instid0(VALU_DEP_1)
	v_mad_u32 v8, v8, s11, v4
.LBB5_159:                              ;   in Loop: Header=BB5_157 Depth=2
	s_and_not1_b32 vcc_lo, exec_lo, s18
	s_cbranch_vccnz .LBB5_156
; %bb.160:                              ;   in Loop: Header=BB5_157 Depth=2
	v_add_nc_u32_e32 v8, v12, v1
	s_branch .LBB5_156
.LBB5_161:
	s_or_b32 exec_lo, exec_lo, s4
.LBB5_162:
	s_add_co_i32 s6, s33, 1
	s_delay_alu instid0(SALU_CYCLE_1)
	s_cmp_ge_i32 s6, s29
	s_cbranch_scc1 .LBB5_211
; %bb.163:
	v_and_b32_e32 v7, 0x3ff, v0
	v_bfe_u32 v2, v0, 10, 10
	s_mul_i32 s33, s33, s11
	s_cmp_lg_u32 s30, 0
	s_mov_b32 s8, s11
	v_mad_u32 v4, s11, s6, v7
	v_dual_sub_nc_u32 v1, s11, v2 :: v_dual_add_nc_u32 v3, 1, v2
	v_lshlrev_b32_e32 v5, 2, v2
	s_cselect_b32 s7, -1, 0
	s_cmp_eq_u32 s30, 0
	s_delay_alu instid0(VALU_DEP_2)
	v_and_b32_e32 v10, -2, v1
	v_cmp_lt_u32_e64 s3, 1, v1
	s_cselect_b32 s0, -1, 0
	s_cmp_gt_i32 s11, 0
	v_lshlrev_b32_e32 v12, 2, v7
	v_cmp_ne_u32_e64 s4, v1, v10
	v_add_nc_u32_e32 v1, s33, v2
	v_add_nc_u32_e32 v11, v2, v10
	v_mul_lo_u32 v13, s11, v4
	v_mul_u32_u24_e32 v4, 0x104, v7
	v_cmp_gt_i32_e64 s1, s11, v7
	v_cmp_gt_i32_e64 s2, s11, v2
	v_mad_u32 v14, s11, v1, s11
	v_mul_lo_u32 v15, 0x104, v11
	v_mul_u32_u24_e32 v16, 0x104, v2
	v_mad_u32_u24 v17, 0x104, v2, v12
	v_add3_u32 v18, v4, v5, 4
	s_cselect_b32 s12, -1, 0
	s_mul_i32 s13, s11, s11
	s_lshl_b32 s14, s11, 6
	s_add_co_i32 s15, s11, 1
.LBB5_164:                              ; =>This Loop Header: Depth=1
                                        ;     Child Loop BB5_167 Depth 2
                                        ;       Child Loop BB5_170 Depth 3
                                        ;       Child Loop BB5_177 Depth 3
                                        ;     Child Loop BB5_184 Depth 2
                                        ;       Child Loop BB5_187 Depth 3
                                        ;         Child Loop BB5_190 Depth 4
                                        ;     Child Loop BB5_195 Depth 2
                                        ;       Child Loop BB5_198 Depth 3
                                        ;       Child Loop BB5_205 Depth 3
	s_mul_i32 s18, s6, s11
	s_wait_storecnt 0x0
	s_and_saveexec_b32 s5, s1
	s_cbranch_execz .LBB5_181
; %bb.165:                              ;   in Loop: Header=BB5_164 Depth=1
	v_dual_mov_b32 v19, v12 :: v_dual_mov_b32 v20, v13
	v_dual_mov_b32 v21, v17 :: v_dual_mov_b32 v4, v7
	s_mov_b32 s19, s18
	s_mov_b32 s20, 0
	s_branch .LBB5_167
.LBB5_166:                              ;   in Loop: Header=BB5_167 Depth=2
	s_or_b32 exec_lo, exec_lo, s21
	v_add_nc_u32_e32 v4, 64, v4
	v_add_nc_u32_e32 v21, 0x100, v21
	;; [unrolled: 1-line block ×4, first 2 shown]
	s_delay_alu instid0(VALU_DEP_4) | instskip(SKIP_1) | instid1(SALU_CYCLE_1)
	v_cmp_le_i32_e32 vcc_lo, s11, v4
	s_or_b32 s20, vcc_lo, s20
	s_and_not1_b32 exec_lo, exec_lo, s20
	s_cbranch_execz .LBB5_181
.LBB5_167:                              ;   Parent Loop BB5_164 Depth=1
                                        ; =>  This Loop Header: Depth=2
                                        ;       Child Loop BB5_170 Depth 3
                                        ;       Child Loop BB5_177 Depth 3
	s_and_saveexec_b32 s21, s2
	s_cbranch_execz .LBB5_166
; %bb.168:                              ;   in Loop: Header=BB5_167 Depth=2
	v_dual_mov_b32 v1, v2 :: v_dual_mov_b32 v5, v16
	s_mov_b32 s31, -1
	s_and_saveexec_b32 s30, s3
	s_cbranch_execz .LBB5_174
; %bb.169:                              ;   in Loop: Header=BB5_167 Depth=2
	v_dual_mov_b32 v22, v21 :: v_dual_add_nc_u32 v1, s18, v4
	v_mov_b64_e32 v[8:9], v[2:3]
	s_mov_b32 s31, 0
	v_mov_b32_e32 v23, v10
	s_delay_alu instid0(VALU_DEP_3) | instskip(NEXT) | instid1(VALU_DEP_1)
	v_mul_lo_u32 v6, v1, s11
	v_dual_mov_b32 v1, v4 :: v_dual_mov_b32 v5, v6
.LBB5_170:                              ;   Parent Loop BB5_164 Depth=1
                                        ;     Parent Loop BB5_167 Depth=2
                                        ; =>    This Inner Loop Header: Depth=3
	s_delay_alu instid0(VALU_DEP_4) | instskip(NEXT) | instid1(VALU_DEP_2)
	v_dual_add_nc_u32 v24, s18, v8 :: v_dual_add_nc_u32 v25, s19, v9
	v_dual_add_nc_u32 v26, v8, v6 :: v_dual_add_nc_u32 v27, v9, v5
	v_dual_add_nc_u32 v23, -2, v23 :: v_dual_add_nc_u32 v9, 2, v9
	s_delay_alu instid0(VALU_DEP_3) | instskip(NEXT) | instid1(VALU_DEP_4)
	v_mad_u32 v24, v24, s11, v4
	v_mad_u32 v25, v25, s8, v1
	v_add_nc_u32_e32 v8, 2, v8
	s_delay_alu instid0(VALU_DEP_4) | instskip(SKIP_1) | instid1(VALU_DEP_3)
	v_cmp_eq_u32_e32 vcc_lo, 0, v23
	s_or_b32 s31, vcc_lo, s31
	v_dual_cndmask_b32 v24, v24, v26, s0 :: v_dual_cndmask_b32 v25, v25, v27, s0
	s_clause 0x1
	global_load_b32 v26, v24, s[16:17] scale_offset
	global_load_b32 v27, v25, s[16:17] scale_offset
	s_wait_loadcnt 0x0
	ds_store_2addr_b32 v22, v26, v27 offset1:65
	v_add_nc_u32_e32 v22, 0x208, v22
	s_wait_xcnt 0x0
	s_and_not1_b32 exec_lo, exec_lo, s31
	s_cbranch_execnz .LBB5_170
; %bb.171:                              ;   in Loop: Header=BB5_167 Depth=2
	s_or_b32 exec_lo, exec_lo, s31
	s_mov_b32 s31, 0
	s_and_saveexec_b32 s34, s4
; %bb.172:                              ;   in Loop: Header=BB5_167 Depth=2
	s_mov_b32 s31, exec_lo
; %bb.173:                              ;   in Loop: Header=BB5_167 Depth=2
	s_or_b32 exec_lo, exec_lo, s34
	v_dual_mov_b32 v1, v11 :: v_dual_mov_b32 v5, v15
	s_or_not1_b32 s31, s31, exec_lo
.LBB5_174:                              ;   in Loop: Header=BB5_167 Depth=2
	s_or_b32 exec_lo, exec_lo, s30
	s_delay_alu instid0(SALU_CYCLE_1)
	s_and_b32 exec_lo, exec_lo, s31
	s_cbranch_execz .LBB5_166
; %bb.175:                              ;   in Loop: Header=BB5_167 Depth=2
	v_add_nc_u32_e32 v5, v19, v5
	s_mov_b32 s30, 0
	s_branch .LBB5_177
.LBB5_176:                              ;   in Loop: Header=BB5_177 Depth=3
	global_load_b32 v6, v6, s[16:17] scale_offset
	v_add_nc_u32_e32 v1, 1, v1
	s_delay_alu instid0(VALU_DEP_1)
	v_cmp_le_i32_e32 vcc_lo, s11, v1
	s_or_b32 s30, vcc_lo, s30
	s_wait_loadcnt 0x0
	ds_store_b32 v5, v6
	v_add_nc_u32_e32 v5, 0x104, v5
	s_and_not1_b32 exec_lo, exec_lo, s30
	s_cbranch_execz .LBB5_166
.LBB5_177:                              ;   Parent Loop BB5_164 Depth=1
                                        ;     Parent Loop BB5_167 Depth=2
                                        ; =>    This Inner Loop Header: Depth=3
	s_and_b32 vcc_lo, exec_lo, s7
	s_mov_b32 s31, -1
                                        ; implicit-def: $vgpr6
	s_cbranch_vccz .LBB5_179
; %bb.178:                              ;   in Loop: Header=BB5_177 Depth=3
	v_add_nc_u32_e32 v6, s18, v1
	s_mov_b32 s31, 0
	s_delay_alu instid0(VALU_DEP_1)
	v_mad_u32 v6, v6, s11, v4
.LBB5_179:                              ;   in Loop: Header=BB5_177 Depth=3
	s_and_not1_b32 vcc_lo, exec_lo, s31
	s_cbranch_vccnz .LBB5_176
; %bb.180:                              ;   in Loop: Header=BB5_177 Depth=3
	v_add_nc_u32_e32 v6, v20, v1
	s_branch .LBB5_176
.LBB5_181:                              ;   in Loop: Header=BB5_164 Depth=1
	s_or_b32 exec_lo, exec_lo, s5
	s_delay_alu instid0(SALU_CYCLE_1)
	s_and_not1_b32 vcc_lo, exec_lo, s12
	s_wait_dscnt 0x0
	s_cbranch_vccnz .LBB5_192
; %bb.182:                              ;   in Loop: Header=BB5_164 Depth=1
	v_dual_mov_b32 v1, v18 :: v_dual_mov_b32 v4, v14
	s_mov_b32 s19, 0
	s_branch .LBB5_184
.LBB5_183:                              ;   in Loop: Header=BB5_184 Depth=2
	s_or_b32 exec_lo, exec_lo, s20
	v_dual_add_nc_u32 v4, s15, v4 :: v_dual_add_nc_u32 v1, 4, v1
	s_add_co_i32 s19, s19, 1
	s_delay_alu instid0(SALU_CYCLE_1)
	s_cmp_eq_u32 s19, s11
	s_cbranch_scc1 .LBB5_192
.LBB5_184:                              ;   Parent Loop BB5_164 Depth=1
                                        ; =>  This Loop Header: Depth=2
                                        ;       Child Loop BB5_187 Depth 3
                                        ;         Child Loop BB5_190 Depth 4
	s_and_saveexec_b32 s20, s1
	s_cbranch_execz .LBB5_183
; %bb.185:                              ;   in Loop: Header=BB5_184 Depth=2
	v_dual_mov_b32 v6, v1 :: v_dual_add_nc_u32 v5, s19, v3
	v_mov_b32_e32 v8, v7
	s_add_co_i32 s21, s19, s33
	s_mov_b32 s30, 0
	s_delay_alu instid0(VALU_DEP_2)
	v_cmp_gt_i32_e64 s5, s11, v5
	s_mul_i32 s21, s21, s11
	s_lshl_b32 s31, s19, 2
	s_branch .LBB5_187
.LBB5_186:                              ;   in Loop: Header=BB5_187 Depth=3
	s_or_b32 exec_lo, exec_lo, s34
	v_add_nc_u32_e32 v8, 64, v8
	v_add_nc_u32_e32 v6, 0x4100, v6
	s_delay_alu instid0(VALU_DEP_2) | instskip(SKIP_1) | instid1(SALU_CYCLE_1)
	v_cmp_le_i32_e32 vcc_lo, s11, v8
	s_or_b32 s30, vcc_lo, s30
	s_and_not1_b32 exec_lo, exec_lo, s30
	s_cbranch_execz .LBB5_183
.LBB5_187:                              ;   Parent Loop BB5_164 Depth=1
                                        ;     Parent Loop BB5_184 Depth=2
                                        ; =>    This Loop Header: Depth=3
                                        ;         Child Loop BB5_190 Depth 4
	s_and_saveexec_b32 s34, s5
	s_cbranch_execz .LBB5_186
; %bb.188:                              ;   in Loop: Header=BB5_187 Depth=3
	v_mad_u32 v9, 0x104, v8, s31
	v_dual_mov_b32 v19, v6 :: v_dual_mov_b32 v20, v4
	v_mov_b32_e32 v21, v5
	s_mov_b32 s35, 0
	s_branch .LBB5_190
.LBB5_189:                              ;   in Loop: Header=BB5_190 Depth=4
	global_load_b32 v22, v22, s[16:17] scale_offset
	ds_load_b32 v23, v9
	ds_load_b32 v24, v19
	v_dual_add_nc_u32 v21, 1, v21 :: v_dual_add_nc_u32 v20, s11, v20
	s_wait_loadcnt_dscnt 0x0
	s_wait_xcnt 0x0
	v_fma_f32 v22, -v22, v23, v24
	s_delay_alu instid0(VALU_DEP_2) | instskip(SKIP_3) | instid1(SALU_CYCLE_1)
	v_cmp_le_i32_e32 vcc_lo, s11, v21
	ds_store_b32 v19, v22
	v_add_nc_u32_e32 v19, 4, v19
	s_or_b32 s35, vcc_lo, s35
	s_and_not1_b32 exec_lo, exec_lo, s35
	s_cbranch_execz .LBB5_186
.LBB5_190:                              ;   Parent Loop BB5_164 Depth=1
                                        ;     Parent Loop BB5_184 Depth=2
                                        ;       Parent Loop BB5_187 Depth=3
                                        ; =>      This Inner Loop Header: Depth=4
	s_delay_alu instid0(VALU_DEP_2)
	v_mov_b32_e32 v22, v20
	s_and_not1_b32 vcc_lo, exec_lo, s7
	s_cbranch_vccnz .LBB5_189
; %bb.191:                              ;   in Loop: Header=BB5_190 Depth=4
	v_add_nc_u32_e32 v22, s21, v21
	s_branch .LBB5_189
.LBB5_192:                              ;   in Loop: Header=BB5_164 Depth=1
	s_wait_dscnt 0x0
	s_and_saveexec_b32 s5, s1
	s_cbranch_execz .LBB5_209
; %bb.193:                              ;   in Loop: Header=BB5_164 Depth=1
	v_dual_mov_b32 v19, v12 :: v_dual_mov_b32 v20, v13
	v_dual_mov_b32 v21, v17 :: v_dual_mov_b32 v4, v7
	s_mov_b32 s19, s18
	s_mov_b32 s20, 0
	s_branch .LBB5_195
.LBB5_194:                              ;   in Loop: Header=BB5_195 Depth=2
	s_or_b32 exec_lo, exec_lo, s21
	v_add_nc_u32_e32 v4, 64, v4
	v_add_nc_u32_e32 v21, 0x100, v21
	v_add_nc_u32_e32 v20, s14, v20
	v_add_nc_u32_e32 v19, 0x100, v19
	s_delay_alu instid0(VALU_DEP_4) | instskip(SKIP_1) | instid1(SALU_CYCLE_1)
	v_cmp_le_i32_e32 vcc_lo, s11, v4
	s_or_b32 s20, vcc_lo, s20
	s_and_not1_b32 exec_lo, exec_lo, s20
	s_cbranch_execz .LBB5_209
.LBB5_195:                              ;   Parent Loop BB5_164 Depth=1
                                        ; =>  This Loop Header: Depth=2
                                        ;       Child Loop BB5_198 Depth 3
                                        ;       Child Loop BB5_205 Depth 3
	s_and_saveexec_b32 s21, s2
	s_cbranch_execz .LBB5_194
; %bb.196:                              ;   in Loop: Header=BB5_195 Depth=2
	v_dual_mov_b32 v1, v2 :: v_dual_mov_b32 v5, v16
	s_mov_b32 s31, -1
	s_and_saveexec_b32 s30, s3
	s_cbranch_execz .LBB5_202
; %bb.197:                              ;   in Loop: Header=BB5_195 Depth=2
	v_dual_mov_b32 v22, v21 :: v_dual_add_nc_u32 v1, s18, v4
	v_mov_b64_e32 v[8:9], v[2:3]
	s_mov_b32 s31, 0
	v_mov_b32_e32 v23, v10
	s_delay_alu instid0(VALU_DEP_3) | instskip(NEXT) | instid1(VALU_DEP_1)
	v_mul_lo_u32 v6, v1, s11
	v_dual_mov_b32 v1, v4 :: v_dual_mov_b32 v5, v6
.LBB5_198:                              ;   Parent Loop BB5_164 Depth=1
                                        ;     Parent Loop BB5_195 Depth=2
                                        ; =>    This Inner Loop Header: Depth=3
	s_delay_alu instid0(VALU_DEP_4)
	v_dual_add_nc_u32 v26, s19, v9 :: v_dual_add_nc_u32 v27, s18, v8
	ds_load_2addr_b32 v[24:25], v22 offset1:65
	v_dual_add_nc_u32 v23, -2, v23 :: v_dual_add_nc_u32 v28, v8, v6
	v_mad_u32 v26, v26, s8, v1
	v_mad_u32 v27, v27, s11, v4
	v_dual_add_nc_u32 v29, v9, v5 :: v_dual_add_nc_u32 v8, 2, v8
	s_delay_alu instid0(VALU_DEP_4)
	v_cmp_eq_u32_e32 vcc_lo, 0, v23
	v_add_nc_u32_e32 v9, 2, v9
	v_add_nc_u32_e32 v22, 0x208, v22
	s_or_b32 s31, vcc_lo, s31
	v_dual_cndmask_b32 v26, v26, v29, s0 :: v_dual_cndmask_b32 v27, v27, v28, s0
	s_wait_dscnt 0x0
	s_clause 0x1
	global_store_b32 v27, v24, s[16:17] scale_offset
	global_store_b32 v26, v25, s[16:17] scale_offset
	s_wait_xcnt 0x0
	s_and_not1_b32 exec_lo, exec_lo, s31
	s_cbranch_execnz .LBB5_198
; %bb.199:                              ;   in Loop: Header=BB5_195 Depth=2
	s_or_b32 exec_lo, exec_lo, s31
	s_mov_b32 s31, 0
	s_and_saveexec_b32 s34, s4
; %bb.200:                              ;   in Loop: Header=BB5_195 Depth=2
	s_mov_b32 s31, exec_lo
; %bb.201:                              ;   in Loop: Header=BB5_195 Depth=2
	s_or_b32 exec_lo, exec_lo, s34
	v_dual_mov_b32 v1, v11 :: v_dual_mov_b32 v5, v15
	s_or_not1_b32 s31, s31, exec_lo
.LBB5_202:                              ;   in Loop: Header=BB5_195 Depth=2
	s_or_b32 exec_lo, exec_lo, s30
	s_delay_alu instid0(SALU_CYCLE_1)
	s_and_b32 exec_lo, exec_lo, s31
	s_cbranch_execz .LBB5_194
; %bb.203:                              ;   in Loop: Header=BB5_195 Depth=2
	v_add_nc_u32_e32 v5, v19, v5
	s_mov_b32 s30, 0
	s_branch .LBB5_205
.LBB5_204:                              ;   in Loop: Header=BB5_205 Depth=3
	v_add_nc_u32_e32 v1, 1, v1
	v_add_nc_u32_e32 v5, 0x104, v5
	s_wait_dscnt 0x0
	global_store_b32 v8, v6, s[16:17] scale_offset
	v_cmp_le_i32_e32 vcc_lo, s11, v1
	s_or_b32 s30, vcc_lo, s30
	s_wait_xcnt 0x0
	s_and_not1_b32 exec_lo, exec_lo, s30
	s_cbranch_execz .LBB5_194
.LBB5_205:                              ;   Parent Loop BB5_164 Depth=1
                                        ;     Parent Loop BB5_195 Depth=2
                                        ; =>    This Inner Loop Header: Depth=3
	ds_load_b32 v6, v5
	s_and_b32 vcc_lo, exec_lo, s7
	s_mov_b32 s31, -1
                                        ; implicit-def: $vgpr8
	s_cbranch_vccz .LBB5_207
; %bb.206:                              ;   in Loop: Header=BB5_205 Depth=3
	v_add_nc_u32_e32 v8, s18, v1
	s_mov_b32 s31, 0
	s_delay_alu instid0(VALU_DEP_1)
	v_mad_u32 v8, v8, s11, v4
.LBB5_207:                              ;   in Loop: Header=BB5_205 Depth=3
	s_and_not1_b32 vcc_lo, exec_lo, s31
	s_cbranch_vccnz .LBB5_204
; %bb.208:                              ;   in Loop: Header=BB5_205 Depth=3
	v_add_nc_u32_e32 v8, v20, v1
	s_branch .LBB5_204
.LBB5_209:                              ;   in Loop: Header=BB5_164 Depth=1
	s_or_b32 exec_lo, exec_lo, s5
; %bb.210:                              ;   in Loop: Header=BB5_164 Depth=1
	v_add_nc_u32_e32 v13, s13, v13
	s_add_co_i32 s6, s6, 1
	s_delay_alu instid0(SALU_CYCLE_1)
	s_cmp_ge_i32 s6, s29
	s_cbranch_scc0 .LBB5_164
.LBB5_211:
	v_and_b32_e32 v0, 0xfffff, v0
	s_mov_b32 s0, exec_lo
	s_delay_alu instid0(VALU_DEP_1)
	v_cmpx_eq_u32_e32 0, v0
	s_cbranch_execz .LBB5_215
; %bb.212:
	v_dual_mov_b32 v0, 0 :: v_dual_mov_b32 v1, 1
	s_add_nc_u64 s[0:1], s[24:25], s[26:27]
	s_and_not1_b32 vcc_lo, exec_lo, s9
	global_wb scope:SCOPE_DEV
	s_wait_storecnt 0x0
	s_wait_loadcnt_dscnt 0x0
	global_store_b32 v0, v1, s[0:1] scope:SCOPE_DEV
	s_cbranch_vccnz .LBB5_215
; %bb.213:
	s_wait_xcnt 0x0
	v_mbcnt_lo_u32_b32 v0, exec_lo, 0
	s_delay_alu instid0(VALU_DEP_1)
	v_cmp_eq_u32_e32 vcc_lo, 0, v0
	s_and_b32 exec_lo, exec_lo, vcc_lo
	s_cbranch_execz .LBB5_215
; %bb.214:
	s_add_co_i32 s0, s28, s10
	s_delay_alu instid0(SALU_CYCLE_1)
	v_dual_mov_b32 v0, 0 :: v_dual_mov_b32 v1, s0
	global_atomic_min_i32 v0, v1, s[22:23] scope:SCOPE_DEV
.LBB5_215:
	s_endpgm
	.section	.rodata,"a",@progbits
	.p2align	6, 0x0
	.amdhsa_kernel _ZN9rocsparseL13bsrilu0_33_64ILj64ELj64ELj64EfEEv20rocsparse_direction_iPKiS3_PT2_S3_iPiS3_S6_21rocsparse_index_base_imNS_24const_host_device_scalarIfEENS8_IdEENS8_IS4_EEb
		.amdhsa_group_segment_fixed_size 16640
		.amdhsa_private_segment_fixed_size 0
		.amdhsa_kernarg_size 116
		.amdhsa_user_sgpr_count 2
		.amdhsa_user_sgpr_dispatch_ptr 0
		.amdhsa_user_sgpr_queue_ptr 0
		.amdhsa_user_sgpr_kernarg_segment_ptr 1
		.amdhsa_user_sgpr_dispatch_id 0
		.amdhsa_user_sgpr_kernarg_preload_length 0
		.amdhsa_user_sgpr_kernarg_preload_offset 0
		.amdhsa_user_sgpr_private_segment_size 0
		.amdhsa_wavefront_size32 1
		.amdhsa_uses_dynamic_stack 0
		.amdhsa_enable_private_segment 0
		.amdhsa_system_sgpr_workgroup_id_x 1
		.amdhsa_system_sgpr_workgroup_id_y 0
		.amdhsa_system_sgpr_workgroup_id_z 0
		.amdhsa_system_sgpr_workgroup_info 0
		.amdhsa_system_vgpr_workitem_id 1
		.amdhsa_next_free_vgpr 113
		.amdhsa_next_free_sgpr 54
		.amdhsa_named_barrier_count 0
		.amdhsa_reserve_vcc 1
		.amdhsa_float_round_mode_32 0
		.amdhsa_float_round_mode_16_64 0
		.amdhsa_float_denorm_mode_32 3
		.amdhsa_float_denorm_mode_16_64 3
		.amdhsa_fp16_overflow 0
		.amdhsa_memory_ordered 1
		.amdhsa_forward_progress 1
		.amdhsa_inst_pref_size 53
		.amdhsa_round_robin_scheduling 0
		.amdhsa_exception_fp_ieee_invalid_op 0
		.amdhsa_exception_fp_denorm_src 0
		.amdhsa_exception_fp_ieee_div_zero 0
		.amdhsa_exception_fp_ieee_overflow 0
		.amdhsa_exception_fp_ieee_underflow 0
		.amdhsa_exception_fp_ieee_inexact 0
		.amdhsa_exception_int_div_zero 0
	.end_amdhsa_kernel
	.section	.text._ZN9rocsparseL13bsrilu0_33_64ILj64ELj64ELj64EfEEv20rocsparse_direction_iPKiS3_PT2_S3_iPiS3_S6_21rocsparse_index_base_imNS_24const_host_device_scalarIfEENS8_IdEENS8_IS4_EEb,"axG",@progbits,_ZN9rocsparseL13bsrilu0_33_64ILj64ELj64ELj64EfEEv20rocsparse_direction_iPKiS3_PT2_S3_iPiS3_S6_21rocsparse_index_base_imNS_24const_host_device_scalarIfEENS8_IdEENS8_IS4_EEb,comdat
.Lfunc_end5:
	.size	_ZN9rocsparseL13bsrilu0_33_64ILj64ELj64ELj64EfEEv20rocsparse_direction_iPKiS3_PT2_S3_iPiS3_S6_21rocsparse_index_base_imNS_24const_host_device_scalarIfEENS8_IdEENS8_IS4_EEb, .Lfunc_end5-_ZN9rocsparseL13bsrilu0_33_64ILj64ELj64ELj64EfEEv20rocsparse_direction_iPKiS3_PT2_S3_iPiS3_S6_21rocsparse_index_base_imNS_24const_host_device_scalarIfEENS8_IdEENS8_IS4_EEb
                                        ; -- End function
	.set _ZN9rocsparseL13bsrilu0_33_64ILj64ELj64ELj64EfEEv20rocsparse_direction_iPKiS3_PT2_S3_iPiS3_S6_21rocsparse_index_base_imNS_24const_host_device_scalarIfEENS8_IdEENS8_IS4_EEb.num_vgpr, 36
	.set _ZN9rocsparseL13bsrilu0_33_64ILj64ELj64ELj64EfEEv20rocsparse_direction_iPKiS3_PT2_S3_iPiS3_S6_21rocsparse_index_base_imNS_24const_host_device_scalarIfEENS8_IdEENS8_IS4_EEb.num_agpr, 0
	.set _ZN9rocsparseL13bsrilu0_33_64ILj64ELj64ELj64EfEEv20rocsparse_direction_iPKiS3_PT2_S3_iPiS3_S6_21rocsparse_index_base_imNS_24const_host_device_scalarIfEENS8_IdEENS8_IS4_EEb.numbered_sgpr, 54
	.set _ZN9rocsparseL13bsrilu0_33_64ILj64ELj64ELj64EfEEv20rocsparse_direction_iPKiS3_PT2_S3_iPiS3_S6_21rocsparse_index_base_imNS_24const_host_device_scalarIfEENS8_IdEENS8_IS4_EEb.num_named_barrier, 0
	.set _ZN9rocsparseL13bsrilu0_33_64ILj64ELj64ELj64EfEEv20rocsparse_direction_iPKiS3_PT2_S3_iPiS3_S6_21rocsparse_index_base_imNS_24const_host_device_scalarIfEENS8_IdEENS8_IS4_EEb.private_seg_size, 0
	.set _ZN9rocsparseL13bsrilu0_33_64ILj64ELj64ELj64EfEEv20rocsparse_direction_iPKiS3_PT2_S3_iPiS3_S6_21rocsparse_index_base_imNS_24const_host_device_scalarIfEENS8_IdEENS8_IS4_EEb.uses_vcc, 1
	.set _ZN9rocsparseL13bsrilu0_33_64ILj64ELj64ELj64EfEEv20rocsparse_direction_iPKiS3_PT2_S3_iPiS3_S6_21rocsparse_index_base_imNS_24const_host_device_scalarIfEENS8_IdEENS8_IS4_EEb.uses_flat_scratch, 0
	.set _ZN9rocsparseL13bsrilu0_33_64ILj64ELj64ELj64EfEEv20rocsparse_direction_iPKiS3_PT2_S3_iPiS3_S6_21rocsparse_index_base_imNS_24const_host_device_scalarIfEENS8_IdEENS8_IS4_EEb.has_dyn_sized_stack, 0
	.set _ZN9rocsparseL13bsrilu0_33_64ILj64ELj64ELj64EfEEv20rocsparse_direction_iPKiS3_PT2_S3_iPiS3_S6_21rocsparse_index_base_imNS_24const_host_device_scalarIfEENS8_IdEENS8_IS4_EEb.has_recursion, 0
	.set _ZN9rocsparseL13bsrilu0_33_64ILj64ELj64ELj64EfEEv20rocsparse_direction_iPKiS3_PT2_S3_iPiS3_S6_21rocsparse_index_base_imNS_24const_host_device_scalarIfEENS8_IdEENS8_IS4_EEb.has_indirect_call, 0
	.section	.AMDGPU.csdata,"",@progbits
; Kernel info:
; codeLenInByte = 6692
; TotalNumSgprs: 56
; NumVgprs: 36
; ScratchSize: 0
; MemoryBound: 0
; FloatMode: 240
; IeeeMode: 1
; LDSByteSize: 16640 bytes/workgroup (compile time only)
; SGPRBlocks: 0
; VGPRBlocks: 7
; NumSGPRsForWavesPerEU: 56
; NumVGPRsForWavesPerEU: 113
; NamedBarCnt: 0
; Occupancy: 8
; WaveLimiterHint : 1
; COMPUTE_PGM_RSRC2:SCRATCH_EN: 0
; COMPUTE_PGM_RSRC2:USER_SGPR: 2
; COMPUTE_PGM_RSRC2:TRAP_HANDLER: 0
; COMPUTE_PGM_RSRC2:TGID_X_EN: 1
; COMPUTE_PGM_RSRC2:TGID_Y_EN: 0
; COMPUTE_PGM_RSRC2:TGID_Z_EN: 0
; COMPUTE_PGM_RSRC2:TIDIG_COMP_CNT: 1
	.section	.text._ZN9rocsparseL15bsrilu0_generalILj128ELj64ELb0EfEEv20rocsparse_direction_iPKiS3_PT2_S3_iPiS3_S6_21rocsparse_index_base_imNS_24const_host_device_scalarIfEENS8_IdEENS8_IS4_EEb,"axG",@progbits,_ZN9rocsparseL15bsrilu0_generalILj128ELj64ELb0EfEEv20rocsparse_direction_iPKiS3_PT2_S3_iPiS3_S6_21rocsparse_index_base_imNS_24const_host_device_scalarIfEENS8_IdEENS8_IS4_EEb,comdat
	.globl	_ZN9rocsparseL15bsrilu0_generalILj128ELj64ELb0EfEEv20rocsparse_direction_iPKiS3_PT2_S3_iPiS3_S6_21rocsparse_index_base_imNS_24const_host_device_scalarIfEENS8_IdEENS8_IS4_EEb ; -- Begin function _ZN9rocsparseL15bsrilu0_generalILj128ELj64ELb0EfEEv20rocsparse_direction_iPKiS3_PT2_S3_iPiS3_S6_21rocsparse_index_base_imNS_24const_host_device_scalarIfEENS8_IdEENS8_IS4_EEb
	.p2align	8
	.type	_ZN9rocsparseL15bsrilu0_generalILj128ELj64ELb0EfEEv20rocsparse_direction_iPKiS3_PT2_S3_iPiS3_S6_21rocsparse_index_base_imNS_24const_host_device_scalarIfEENS8_IdEENS8_IS4_EEb,@function
_ZN9rocsparseL15bsrilu0_generalILj128ELj64ELb0EfEEv20rocsparse_direction_iPKiS3_PT2_S3_iPiS3_S6_21rocsparse_index_base_imNS_24const_host_device_scalarIfEENS8_IdEENS8_IS4_EEb: ; @_ZN9rocsparseL15bsrilu0_generalILj128ELj64ELb0EfEEv20rocsparse_direction_iPKiS3_PT2_S3_iPiS3_S6_21rocsparse_index_base_imNS_24const_host_device_scalarIfEENS8_IdEENS8_IS4_EEb
; %bb.0:
	s_clause 0x2
	s_load_b32 s2, s[0:1], 0x70
	s_load_b64 s[6:7], s[0:1], 0x48
	s_load_b256 s[16:23], s[0:1], 0x50
	s_wait_kmcnt 0x0
	s_bitcmp1_b32 s2, 0
	s_cselect_b32 s2, -1, 0
	s_cmp_eq_u32 s7, 0
	s_cselect_b32 s4, -1, 0
	s_cmp_lg_u32 s7, 0
	s_cselect_b32 s26, -1, 0
	s_or_b32 s7, s4, s2
	s_delay_alu instid0(SALU_CYCLE_1)
	s_xor_b32 s5, s7, -1
	s_and_b32 s2, s4, exec_lo
	s_cselect_b32 s3, 0, s21
	s_cselect_b32 s2, 0, s20
	;; [unrolled: 1-line block ×3, first 2 shown]
	s_and_b32 vcc_lo, exec_lo, s7
	s_cbranch_vccnz .LBB6_2
; %bb.1:
	s_load_b32 s28, s[18:19], 0x0
	s_mov_b64 s[2:3], s[20:21]
.LBB6_2:
	s_delay_alu instid0(SALU_CYCLE_1)
	v_mov_b64_e32 v[4:5], s[2:3]
	v_cndmask_b32_e64 v1, 0, 1, s5
	s_and_not1_b32 vcc_lo, exec_lo, s5
	s_cbranch_vccnz .LBB6_4
; %bb.3:
	v_mov_b32_e32 v2, 0
	flat_load_b64 v[4:5], v2, s[20:21]
.LBB6_4:
	s_delay_alu instid0(VALU_DEP_1)
	v_cmp_ne_u32_e32 vcc_lo, 1, v1
	s_and_b32 s2, s4, exec_lo
	s_cselect_b32 s27, 0, s22
	s_cbranch_vccnz .LBB6_6
; %bb.5:
	s_load_b32 s27, s[22:23], 0x0
.LBB6_6:
	s_load_b64 s[24:25], s[0:1], 0x0
	s_bfe_u32 s2, ttmp6, 0x4000c
	s_and_b32 s3, ttmp6, 15
	s_add_co_i32 s2, s2, 1
	s_getreg_b32 s4, hwreg(HW_REG_IB_STS2, 6, 4)
	s_mul_i32 s2, ttmp9, s2
	v_lshrrev_b32_e32 v1, 6, v0
	s_add_co_i32 s3, s3, s2
	s_cmp_eq_u32 s4, 0
	s_cselect_b32 s2, ttmp9, s3
	s_delay_alu instid0(SALU_CYCLE_1) | instskip(NEXT) | instid1(SALU_CYCLE_1)
	s_lshl_b32 s2, s2, 1
	v_and_or_b32 v1, 0x3fffffe, s2, v1
	s_mov_b32 s2, exec_lo
	s_wait_kmcnt 0x0
	s_delay_alu instid0(VALU_DEP_1)
	v_cmpx_gt_i32_e64 s25, v1
	s_cbranch_execz .LBB6_139
; %bb.7:
	s_clause 0x2
	s_load_b128 s[20:23], s[0:1], 0x30
	s_load_b64 s[18:19], s[0:1], 0x40
	s_load_b256 s[8:15], s[0:1], 0x8
	s_mov_b32 s2, -1
	s_mov_b32 s5, exec_lo
	s_wait_kmcnt 0x0
	global_load_b32 v2, v1, s[22:23] scale_offset
	s_wait_loadcnt 0x0
	v_dual_ashrrev_i32 v3, 31, v2 :: v_dual_bitop2_b32 v10, 63, v0 bitop3:0x40
	global_load_b32 v12, v2, s[14:15] scale_offset
	s_wait_loadcnt 0x0
	v_cmpx_ne_u32_e32 -1, v12
	s_cbranch_execz .LBB6_133
; %bb.8:
	v_lshl_add_u64 v[0:1], v[2:3], 2, s[8:9]
	s_load_b32 s7, s[0:1], 0x28
	s_mov_b32 s2, 0
	s_mov_b32 s22, exec_lo
	global_load_b64 v[0:1], v[0:1], off
	s_wait_loadcnt 0x0
	v_subrev_nc_u32_e32 v13, s6, v0
	v_subrev_nc_u32_e32 v11, s6, v1
	s_delay_alu instid0(VALU_DEP_2)
	v_cmpx_lt_i32_e64 v13, v12
	s_cbranch_execz .LBB6_74
; %bb.9:
	s_wait_kmcnt 0x0
	v_mad_u32 v1, s7, v13, v10
	v_add_nc_u32_e32 v0, v13, v10
	s_cmp_gt_i32 s7, 0
	v_cmp_gt_i32_e64 s0, s7, v10
	v_cmp_le_i32_e64 s1, s7, v10
	s_cselect_b32 s29, -1, 0
	v_cmp_lt_i32_e64 s2, v0, v11
	s_cmp_lg_u32 s24, 0
	s_mov_b32 s35, 0
	s_mul_i32 s23, s7, s7
	s_cselect_b32 s30, -1, 0
	v_mul_lo_u32 v14, s7, v1
	v_ashrrev_i32_e32 v1, 31, v0
	s_add_co_i32 s25, s25, 1
	s_add_co_i32 s31, s7, 1
	s_lshl_b32 s33, s7, 6
	s_add_co_i32 s34, s7, -1
	v_lshl_add_u64 v[6:7], v[0:1], 2, s[10:11]
	s_mov_b32 s36, 0
                                        ; implicit-def: $sgpr37
                                        ; implicit-def: $sgpr38
	s_delay_alu instid0(VALU_DEP_3)
	v_add_nc_u32_e32 v1, 1, v14
	s_branch .LBB6_12
.LBB6_10:                               ;   in Loop: Header=BB6_12 Depth=1
	s_or_b32 exec_lo, exec_lo, s4
	s_delay_alu instid0(SALU_CYCLE_1) | instskip(SKIP_1) | instid1(SALU_CYCLE_1)
	s_and_not1_b32 s4, s38, exec_lo
	s_and_b32 s35, s35, exec_lo
	s_or_b32 s38, s4, s35
.LBB6_11:                               ;   in Loop: Header=BB6_12 Depth=1
	s_or_b32 exec_lo, exec_lo, s39
	v_dual_add_nc_u32 v13, 1, v13 :: v_dual_add_nc_u32 v14, s23, v14
	s_xor_b32 s3, s3, -1
	v_add_nc_u32_e32 v1, s23, v1
	s_mov_b32 s35, s38
	s_delay_alu instid0(VALU_DEP_2) | instskip(SKIP_1) | instid1(SALU_CYCLE_1)
	v_cmp_ge_i32_e32 vcc_lo, v13, v12
	s_or_b32 s3, s3, vcc_lo
	s_and_b32 s3, exec_lo, s3
	s_delay_alu instid0(SALU_CYCLE_1) | instskip(SKIP_2) | instid1(SALU_CYCLE_1)
	s_or_b32 s36, s3, s36
	s_and_not1_b32 s3, s37, exec_lo
	s_and_b32 s4, s38, exec_lo
	s_or_b32 s37, s3, s4
	s_and_not1_b32 exec_lo, exec_lo, s36
	s_cbranch_execz .LBB6_73
.LBB6_12:                               ; =>This Loop Header: Depth=1
                                        ;     Child Loop BB6_15 Depth 2
                                        ;     Child Loop BB6_20 Depth 2
                                        ;       Child Loop BB6_25 Depth 3
                                        ;         Child Loop BB6_34 Depth 4
                                        ;     Child Loop BB6_47 Depth 2
                                        ;       Child Loop BB6_52 Depth 3
                                        ;       Child Loop BB6_59 Depth 3
                                        ;         Child Loop BB6_61 Depth 4
                                        ;           Child Loop BB6_63 Depth 5
	global_load_b32 v8, v13, s[10:11] scale_offset
	s_or_b32 s38, s38, exec_lo
	s_wait_loadcnt 0x0
	v_subrev_nc_u32_e32 v8, s6, v8
	global_load_b32 v15, v8, s[14:15] scale_offset
	s_wait_loadcnt 0x0
	v_cmp_ne_u32_e64 s3, -1, v15
	s_wait_xcnt 0x0
	s_and_saveexec_b32 s39, s3
	s_cbranch_execz .LBB6_11
; %bb.13:                               ;   in Loop: Header=BB6_12 Depth=1
	v_ashrrev_i32_e32 v9, 31, v8
	s_mov_b32 s4, exec_lo
	s_delay_alu instid0(VALU_DEP_1) | instskip(SKIP_1) | instid1(VALU_DEP_1)
	v_lshlrev_b64_e32 v[8:9], 2, v[8:9]
	s_wait_dscnt 0x0
	v_add_nc_u64_e32 v[18:19], s[8:9], v[8:9]
	v_add_nc_u64_e32 v[8:9], s[20:21], v[8:9]
	global_load_b32 v16, v[18:19], off offset:4
	global_load_b32 v17, v[8:9], off scope:SCOPE_DEV
	s_wait_loadcnt 0x0
	s_wait_xcnt 0x0
	v_cmpx_eq_u32_e32 0, v17
	s_cbranch_execz .LBB6_16
; %bb.14:                               ;   in Loop: Header=BB6_12 Depth=1
	s_mov_b32 s40, 0
.LBB6_15:                               ;   Parent Loop BB6_12 Depth=1
                                        ; =>  This Inner Loop Header: Depth=2
	global_load_b32 v17, v[8:9], off scope:SCOPE_DEV
	s_wait_loadcnt 0x0
	v_cmp_ne_u32_e32 vcc_lo, 0, v17
	s_or_b32 s40, vcc_lo, s40
	s_wait_xcnt 0x0
	s_and_not1_b32 exec_lo, exec_lo, s40
	s_cbranch_execnz .LBB6_15
.LBB6_16:                               ;   in Loop: Header=BB6_12 Depth=1
	s_or_b32 exec_lo, exec_lo, s4
	v_mul_lo_u32 v8, v13, s7
	s_and_not1_b32 vcc_lo, exec_lo, s29
	s_wait_dscnt 0x0
	global_inv scope:SCOPE_DEV
	s_cbranch_vccnz .LBB6_43
; %bb.17:                               ;   in Loop: Header=BB6_12 Depth=1
	v_mul_lo_u32 v9, v15, s7
	v_mad_u32 v17, s23, v15, 1
	v_dual_mov_b32 v18, 0 :: v_dual_mov_b32 v19, v1
	s_mov_b32 s40, 0
	s_mov_b32 s41, s34
	s_branch .LBB6_20
.LBB6_18:                               ;   in Loop: Header=BB6_20 Depth=2
	s_or_b32 exec_lo, exec_lo, s43
	v_mov_b32_e32 v18, v20
.LBB6_19:                               ;   in Loop: Header=BB6_20 Depth=2
	s_or_b32 exec_lo, exec_lo, s42
	s_delay_alu instid0(VALU_DEP_1) | instskip(SKIP_3) | instid1(SALU_CYCLE_1)
	v_cmp_eq_u32_e32 vcc_lo, s7, v18
	v_dual_add_nc_u32 v17, s31, v17 :: v_dual_add_nc_u32 v19, 1, v19
	s_add_co_i32 s41, s41, -1
	s_or_b32 s40, vcc_lo, s40
	s_and_not1_b32 exec_lo, exec_lo, s40
	s_cbranch_execz .LBB6_42
.LBB6_20:                               ;   Parent Loop BB6_12 Depth=1
                                        ; =>  This Loop Header: Depth=2
                                        ;       Child Loop BB6_25 Depth 3
                                        ;         Child Loop BB6_34 Depth 4
	s_delay_alu instid0(VALU_DEP_1) | instskip(SKIP_1) | instid1(SALU_CYCLE_1)
	v_add_nc_u32_e32 v20, 1, v18
	s_and_saveexec_b32 s4, s1
	s_xor_b32 s4, exec_lo, s4
; %bb.21:                               ;   in Loop: Header=BB6_20 Depth=2
	v_add_nc_u32_e32 v18, 1, v18
                                        ; implicit-def: $vgpr20
; %bb.22:                               ;   in Loop: Header=BB6_20 Depth=2
	s_and_not1_saveexec_b32 s42, s4
	s_cbranch_execz .LBB6_19
; %bb.23:                               ;   in Loop: Header=BB6_20 Depth=2
	s_delay_alu instid0(VALU_DEP_1) | instskip(SKIP_2) | instid1(VALU_DEP_3)
	v_dual_add_nc_u32 v21, v18, v9 :: v_dual_add_nc_u32 v22, v18, v8
	v_cmp_gt_i32_e64 s4, s7, v20
	v_dual_mov_b32 v23, v19 :: v_dual_mov_b32 v24, v10
	v_mad_u32 v21, v21, s7, v18
	s_delay_alu instid0(VALU_DEP_4)
	v_mul_lo_u32 v22, v22, s7
	s_mov_b32 s43, 0
	global_load_b32 v21, v21, s[12:13] scale_offset
	s_branch .LBB6_25
.LBB6_24:                               ;   in Loop: Header=BB6_25 Depth=3
	s_wait_xcnt 0x0
	s_or_b32 exec_lo, exec_lo, s44
	v_dual_add_nc_u32 v24, 64, v24 :: v_dual_add_nc_u32 v23, s33, v23
	s_delay_alu instid0(VALU_DEP_1) | instskip(SKIP_1) | instid1(SALU_CYCLE_1)
	v_cmp_le_i32_e32 vcc_lo, s7, v24
	s_or_b32 s43, vcc_lo, s43
	s_and_not1_b32 exec_lo, exec_lo, s43
	s_cbranch_execz .LBB6_18
.LBB6_25:                               ;   Parent Loop BB6_12 Depth=1
                                        ;     Parent Loop BB6_20 Depth=2
                                        ; =>    This Loop Header: Depth=3
                                        ;         Child Loop BB6_34 Depth 4
	v_add_nc_u32_e32 v26, v24, v22
	s_and_b32 vcc_lo, exec_lo, s30
	s_cbranch_vccz .LBB6_40
; %bb.26:                               ;   in Loop: Header=BB6_25 Depth=3
	v_add_nc_u32_e32 v25, v24, v22
	v_add_nc_u32_e32 v28, v24, v8
	s_delay_alu instid0(VALU_DEP_1)
	v_mad_u32 v27, v28, s7, v18
	s_cbranch_execnz .LBB6_28
.LBB6_27:                               ;   in Loop: Header=BB6_25 Depth=3
	v_mad_u32 v25, v28, s7, v18
.LBB6_28:                               ;   in Loop: Header=BB6_25 Depth=3
	global_load_b32 v25, v25, s[12:13] scale_offset
	s_and_b32 vcc_lo, exec_lo, s30
	s_cbranch_vccz .LBB6_41
; %bb.29:                               ;   in Loop: Header=BB6_25 Depth=3
	s_cbranch_execnz .LBB6_31
.LBB6_30:                               ;   in Loop: Header=BB6_25 Depth=3
	v_mov_b32_e32 v26, v27
.LBB6_31:                               ;   in Loop: Header=BB6_25 Depth=3
	s_wait_loadcnt 0x0
	v_div_scale_f32 v27, null, v21, v21, v25
	s_delay_alu instid0(VALU_DEP_1) | instskip(SKIP_1) | instid1(TRANS32_DEP_1)
	v_rcp_f32_e32 v28, v27
	v_nop
	v_fma_f32 v29, -v27, v28, 1.0
	s_delay_alu instid0(VALU_DEP_1) | instskip(SKIP_1) | instid1(VALU_DEP_1)
	v_fmac_f32_e32 v28, v29, v28
	v_div_scale_f32 v29, vcc_lo, v25, v21, v25
	v_mul_f32_e32 v30, v29, v28
	s_delay_alu instid0(VALU_DEP_1) | instskip(NEXT) | instid1(VALU_DEP_1)
	v_fma_f32 v31, -v27, v30, v29
	v_fmac_f32_e32 v30, v31, v28
	s_delay_alu instid0(VALU_DEP_1) | instskip(NEXT) | instid1(VALU_DEP_1)
	v_fma_f32 v27, -v27, v30, v29
	v_div_fmas_f32 v27, v27, v28, v30
	s_wait_xcnt 0x0
	s_delay_alu instid0(VALU_DEP_1)
	v_div_fixup_f32 v25, v27, v21, v25
	global_store_b32 v26, v25, s[12:13] scale_offset
	s_wait_xcnt 0x0
	s_and_saveexec_b32 s44, s4
	s_cbranch_execz .LBB6_24
; %bb.32:                               ;   in Loop: Header=BB6_25 Depth=3
	v_dual_mov_b32 v26, v23 :: v_dual_mov_b32 v27, v17
	v_mov_b32_e32 v28, v20
	s_mov_b32 s45, s41
	s_branch .LBB6_34
.LBB6_33:                               ;   in Loop: Header=BB6_34 Depth=4
	s_wait_loadcnt 0x0
	s_wait_xcnt 0x1
	v_dual_fma_f32 v29, -v25, v29, v32 :: v_dual_add_nc_u32 v28, 1, v28
	v_dual_add_nc_u32 v27, 1, v27 :: v_dual_add_nc_u32 v26, 1, v26
	s_add_co_i32 s45, s45, -1
	global_store_b32 v31, v29, s[12:13] scale_offset
	s_cmp_eq_u32 s45, 0
	s_cbranch_scc1 .LBB6_24
.LBB6_34:                               ;   Parent Loop BB6_12 Depth=1
                                        ;     Parent Loop BB6_20 Depth=2
                                        ;       Parent Loop BB6_25 Depth=3
                                        ; =>      This Inner Loop Header: Depth=4
	s_wait_xcnt 0x0
	v_mov_b32_e32 v29, v27
	s_and_not1_b32 vcc_lo, exec_lo, s30
	s_cbranch_vccnz .LBB6_36
; %bb.35:                               ;   in Loop: Header=BB6_34 Depth=4
	v_add_nc_u32_e32 v29, v28, v9
	s_delay_alu instid0(VALU_DEP_1)
	v_mad_u32 v29, v29, s7, v18
.LBB6_36:                               ;   in Loop: Header=BB6_34 Depth=4
	global_load_b32 v29, v29, s[12:13] scale_offset
	v_dual_mov_b32 v32, v26 :: v_dual_add_nc_u32 v31, v28, v8
	s_and_not1_b32 vcc_lo, exec_lo, s30
	s_delay_alu instid0(VALU_DEP_1)
	v_mad_u32 v30, v31, s7, v24
	s_cbranch_vccnz .LBB6_38
; %bb.37:                               ;   in Loop: Header=BB6_34 Depth=4
	v_mad_u32 v32, v31, s7, v24
.LBB6_38:                               ;   in Loop: Header=BB6_34 Depth=4
	global_load_b32 v32, v32, s[12:13] scale_offset
	v_mov_b32_e32 v31, v26
	s_and_not1_b32 vcc_lo, exec_lo, s30
	s_cbranch_vccnz .LBB6_33
; %bb.39:                               ;   in Loop: Header=BB6_34 Depth=4
	v_mov_b32_e32 v31, v30
	s_branch .LBB6_33
.LBB6_40:                               ;   in Loop: Header=BB6_25 Depth=3
                                        ; implicit-def: $vgpr25
	v_add_nc_u32_e32 v28, v24, v8
	s_delay_alu instid0(VALU_DEP_1)
	v_mad_u32 v27, v28, s7, v18
	s_branch .LBB6_27
.LBB6_41:                               ;   in Loop: Header=BB6_25 Depth=3
                                        ; implicit-def: $vgpr26
	s_branch .LBB6_30
.LBB6_42:                               ;   in Loop: Header=BB6_12 Depth=1
	s_or_b32 exec_lo, exec_lo, s40
.LBB6_43:                               ;   in Loop: Header=BB6_12 Depth=1
	v_subrev_nc_u32_e32 v9, s6, v16
	v_add_nc_u32_e32 v15, 1, v15
	s_mov_b32 s4, exec_lo
	s_delay_alu instid0(VALU_DEP_1)
	v_cmpx_lt_i32_e64 v15, v9
	s_cbranch_execz .LBB6_10
; %bb.44:                               ;   in Loop: Header=BB6_12 Depth=1
	v_mul_lo_u32 v16, s23, v15
	s_mov_b32 s40, 0
	s_branch .LBB6_47
.LBB6_45:                               ;   in Loop: Header=BB6_47 Depth=2
	s_or_b32 exec_lo, exec_lo, s41
.LBB6_46:                               ;   in Loop: Header=BB6_47 Depth=2
	v_dual_add_nc_u32 v15, 1, v15 :: v_dual_add_nc_u32 v16, s23, v16
	s_delay_alu instid0(VALU_DEP_1) | instskip(SKIP_1) | instid1(SALU_CYCLE_1)
	v_cmp_ge_i32_e32 vcc_lo, v15, v9
	s_or_b32 s40, vcc_lo, s40
	s_and_not1_b32 exec_lo, exec_lo, s40
	s_cbranch_execz .LBB6_10
.LBB6_47:                               ;   Parent Loop BB6_12 Depth=1
                                        ; =>  This Loop Header: Depth=2
                                        ;       Child Loop BB6_52 Depth 3
                                        ;       Child Loop BB6_59 Depth 3
                                        ;         Child Loop BB6_61 Depth 4
                                        ;           Child Loop BB6_63 Depth 5
	global_load_b32 v17, v15, s[10:11] scale_offset
	s_wait_dscnt 0x0
	v_mov_b32_e32 v18, s25
	s_wait_xcnt 0x0
	s_and_saveexec_b32 s41, s2
	s_cbranch_execz .LBB6_49
; %bb.48:                               ;   in Loop: Header=BB6_47 Depth=2
	global_load_b32 v18, v[6:7], off
	s_wait_loadcnt 0x0
	v_subrev_nc_u32_e32 v18, s6, v18
.LBB6_49:                               ;   in Loop: Header=BB6_47 Depth=2
	s_wait_xcnt 0x0
	s_or_b32 exec_lo, exec_lo, s41
	s_wait_loadcnt 0x0
	v_subrev_nc_u32_e32 v17, s6, v17
	v_mov_b32_e32 v19, v0
	s_mov_b32 s41, exec_lo
	s_delay_alu instid0(VALU_DEP_2)
	v_cmpx_lt_i32_e64 v18, v17
	s_cbranch_execz .LBB6_55
; %bb.50:                               ;   in Loop: Header=BB6_47 Depth=2
	v_mov_b32_e32 v20, v0
	s_mov_b32 s42, 0
	s_branch .LBB6_52
.LBB6_51:                               ;   in Loop: Header=BB6_52 Depth=3
	s_wait_xcnt 0x0
	s_or_b32 exec_lo, exec_lo, s43
	s_delay_alu instid0(VALU_DEP_1) | instskip(SKIP_2) | instid1(SALU_CYCLE_1)
	v_cmp_ge_i32_e32 vcc_lo, v18, v17
	v_mov_b32_e32 v20, v19
	s_or_b32 s42, vcc_lo, s42
	s_and_not1_b32 exec_lo, exec_lo, s42
	s_cbranch_execz .LBB6_54
.LBB6_52:                               ;   Parent Loop BB6_12 Depth=1
                                        ;     Parent Loop BB6_47 Depth=2
                                        ; =>    This Inner Loop Header: Depth=3
	s_delay_alu instid0(VALU_DEP_1) | instskip(SKIP_1) | instid1(VALU_DEP_1)
	v_dual_mov_b32 v18, s25 :: v_dual_add_nc_u32 v19, 64, v20
	s_mov_b32 s43, exec_lo
	v_cmpx_lt_i32_e64 v19, v11
	s_cbranch_execz .LBB6_51
; %bb.53:                               ;   in Loop: Header=BB6_52 Depth=3
	global_load_b32 v18, v20, s[10:11] offset:256 scale_offset
	s_wait_loadcnt 0x0
	v_subrev_nc_u32_e32 v18, s6, v18
	s_branch .LBB6_51
.LBB6_54:                               ;   in Loop: Header=BB6_47 Depth=2
	s_or_b32 exec_lo, exec_lo, s42
.LBB6_55:                               ;   in Loop: Header=BB6_47 Depth=2
	s_delay_alu instid0(SALU_CYCLE_1)
	s_or_b32 exec_lo, exec_lo, s41
	v_cmp_eq_u32_e32 vcc_lo, v18, v17
	s_cbranch_vccz .LBB6_46
; %bb.56:                               ;   in Loop: Header=BB6_47 Depth=2
	s_ctz_i32_b32 s41, vcc_lo
	s_delay_alu instid0(SALU_CYCLE_1) | instskip(NEXT) | instid1(SALU_CYCLE_1)
	s_lshl_b32 s41, s41, 2
	v_mov_b32_e32 v17, s41
	ds_bpermute_b32 v18, v17, v19
	s_and_saveexec_b32 s41, s0
	s_cbranch_execz .LBB6_45
; %bb.57:                               ;   in Loop: Header=BB6_47 Depth=2
	v_mul_lo_u32 v17, v15, s7
	s_wait_dscnt 0x0
	v_mul_lo_u32 v18, v18, s7
	v_dual_mov_b32 v19, v14 :: v_dual_mov_b32 v20, v10
	s_mov_b32 s42, 0
	s_branch .LBB6_59
.LBB6_58:                               ;   in Loop: Header=BB6_59 Depth=3
	v_dual_add_nc_u32 v20, 64, v20 :: v_dual_add_nc_u32 v19, s33, v19
	s_delay_alu instid0(VALU_DEP_1)
	v_cmp_le_i32_e32 vcc_lo, s7, v20
	s_or_b32 s42, vcc_lo, s42
	s_wait_xcnt 0x0
	s_and_not1_b32 exec_lo, exec_lo, s42
	s_cbranch_execz .LBB6_45
.LBB6_59:                               ;   Parent Loop BB6_12 Depth=1
                                        ;     Parent Loop BB6_47 Depth=2
                                        ; =>    This Loop Header: Depth=3
                                        ;         Child Loop BB6_61 Depth 4
                                        ;           Child Loop BB6_63 Depth 5
	s_delay_alu instid0(VALU_DEP_1) | instskip(SKIP_2) | instid1(VALU_DEP_2)
	v_add_nc_u32_e32 v21, v20, v18
	v_mov_b32_e32 v22, v16
	s_mov_b32 s43, 0
	v_mul_lo_u32 v21, v21, s7
	s_branch .LBB6_61
.LBB6_60:                               ;   in Loop: Header=BB6_61 Depth=4
	global_load_b32 v25, v24, s[12:13] scale_offset
	s_add_co_i32 s43, s43, 1
	v_add_nc_u32_e32 v22, 1, v22
	s_cmp_eq_u32 s43, s7
	s_wait_loadcnt 0x0
	v_sub_f32_e32 v23, v25, v23
	global_store_b32 v24, v23, s[12:13] scale_offset
	s_cbranch_scc1 .LBB6_58
.LBB6_61:                               ;   Parent Loop BB6_12 Depth=1
                                        ;     Parent Loop BB6_47 Depth=2
                                        ;       Parent Loop BB6_59 Depth=3
                                        ; =>      This Loop Header: Depth=4
                                        ;           Child Loop BB6_63 Depth 5
	s_wait_xcnt 0x0
	v_dual_add_nc_u32 v23, s43, v17 :: v_dual_mov_b32 v25, v22
	s_mov_b32 s44, 0
	s_delay_alu instid0(VALU_DEP_1)
	v_mul_lo_u32 v24, v23, s7
	v_mov_b32_e32 v23, 0
	s_branch .LBB6_63
.LBB6_62:                               ;   in Loop: Header=BB6_63 Depth=5
	global_load_b32 v27, v27, s[12:13] scale_offset
	s_add_co_i32 s44, s44, 1
	v_add_nc_u32_e32 v25, s7, v25
	s_cmp_eq_u32 s7, s44
	s_wait_loadcnt 0x0
	v_fmac_f32_e32 v23, v26, v27
	s_cbranch_scc1 .LBB6_69
.LBB6_63:                               ;   Parent Loop BB6_12 Depth=1
                                        ;     Parent Loop BB6_47 Depth=2
                                        ;       Parent Loop BB6_59 Depth=3
                                        ;         Parent Loop BB6_61 Depth=4
                                        ; =>        This Inner Loop Header: Depth=5
	s_and_b32 vcc_lo, exec_lo, s30
	s_cbranch_vccz .LBB6_68
; %bb.64:                               ;   in Loop: Header=BB6_63 Depth=5
	s_wait_xcnt 0x1
	v_add_nc_u32_e32 v26, s44, v8
	s_delay_alu instid0(VALU_DEP_1)
	v_mad_u32 v26, v26, s7, v20
	s_cbranch_execnz .LBB6_66
.LBB6_65:                               ;   in Loop: Header=BB6_63 Depth=5
	s_wait_xcnt 0x1
	v_add_nc_u32_e32 v26, s44, v19
.LBB6_66:                               ;   in Loop: Header=BB6_63 Depth=5
	global_load_b32 v26, v26, s[12:13] scale_offset
	s_wait_xcnt 0x1
	v_mov_b32_e32 v27, v25
	s_and_not1_b32 vcc_lo, exec_lo, s30
	s_cbranch_vccnz .LBB6_62
; %bb.67:                               ;   in Loop: Header=BB6_63 Depth=5
	v_add_nc_u32_e32 v27, s44, v24
	s_branch .LBB6_62
.LBB6_68:                               ;   in Loop: Header=BB6_63 Depth=5
                                        ; implicit-def: $vgpr26
	s_branch .LBB6_65
.LBB6_69:                               ;   in Loop: Header=BB6_61 Depth=4
	s_and_b32 vcc_lo, exec_lo, s30
	s_cbranch_vccz .LBB6_71
; %bb.70:                               ;   in Loop: Header=BB6_61 Depth=4
	v_add_nc_u32_e32 v24, s43, v18
	s_delay_alu instid0(VALU_DEP_1)
	v_mad_u32 v24, v24, s7, v20
	s_cbranch_execnz .LBB6_60
	s_branch .LBB6_72
.LBB6_71:                               ;   in Loop: Header=BB6_61 Depth=4
                                        ; implicit-def: $vgpr24
.LBB6_72:                               ;   in Loop: Header=BB6_61 Depth=4
	v_add_nc_u32_e32 v24, s43, v21
	s_branch .LBB6_60
.LBB6_73:
	s_or_b32 exec_lo, exec_lo, s36
	s_delay_alu instid0(SALU_CYCLE_1)
	s_and_b32 s2, s37, exec_lo
.LBB6_74:
	s_or_b32 exec_lo, exec_lo, s22
	global_load_b32 v0, v12, s[10:11] scale_offset
	s_wait_kmcnt 0x0
	s_cmp_gt_i32 s7, 0
	s_mov_b32 s8, 0
	s_cselect_b32 s3, -1, 0
	s_wait_loadcnt 0x0
	v_subrev_nc_u32_e32 v0, s6, v0
	s_delay_alu instid0(VALU_DEP_1)
	v_cmp_eq_u32_e32 vcc_lo, v0, v2
	s_and_b32 s0, s3, vcc_lo
	s_wait_xcnt 0x0
	s_and_saveexec_b32 s4, s0
	s_cbranch_execz .LBB6_108
; %bb.75:
	v_cvt_f64_f32_e32 v[0:1], s28
	v_mul_lo_u32 v6, v12, s7
	s_cmp_eq_u64 s[16:17], 8
	s_mul_i32 s0, s7, s7
	s_cselect_b32 vcc_lo, -1, 0
	s_cmp_lg_u32 s24, 0
	v_mad_u32 v7, v12, s0, 1
	s_cselect_b32 s9, -1, 0
	s_add_co_i32 s10, s7, 1
	v_cmp_eq_u32_e64 s0, 0, v10
	s_lshl_b32 s11, s7, 6
	v_dual_mov_b32 v9, 0 :: v_dual_add_nc_u32 v8, v6, v10
	s_add_co_i32 s14, s7, -1
	s_mov_b32 s16, s2
                                        ; implicit-def: $sgpr15
	s_delay_alu instid0(VALU_DEP_1)
	v_mad_u32 v8, s7, v8, s10
	s_wait_dscnt 0x0
	v_dual_cndmask_b32 v1, v1, v5 :: v_dual_cndmask_b32 v0, v0, v4
	s_branch .LBB6_77
.LBB6_76:                               ;   in Loop: Header=BB6_77 Depth=1
	s_or_b32 exec_lo, exec_lo, s1
	s_delay_alu instid0(VALU_DEP_1)
	v_cmp_eq_u32_e32 vcc_lo, s7, v4
	s_add_co_i32 s14, s14, -1
	v_dual_add_nc_u32 v7, s10, v7 :: v_dual_add_nc_u32 v8, s10, v8
	v_mov_b32_e32 v9, v4
	s_or_b32 s8, vcc_lo, s8
	s_and_not1_b32 s1, s15, exec_lo
	s_and_b32 s15, s16, exec_lo
	s_delay_alu instid0(SALU_CYCLE_1)
	s_or_b32 s15, s1, s15
	s_and_not1_b32 exec_lo, exec_lo, s8
	s_cbranch_execz .LBB6_107
.LBB6_77:                               ; =>This Loop Header: Depth=1
                                        ;     Child Loop BB6_87 Depth 2
                                        ;       Child Loop BB6_96 Depth 3
	v_add_nc_u32_e32 v4, v9, v6
	s_mov_b32 s17, 0
	s_and_not1_b32 vcc_lo, exec_lo, s26
	s_mov_b32 s1, 0
	s_mov_b32 s22, -1
	v_mul_lo_u32 v13, v4, s7
                                        ; implicit-def: $vgpr15
	s_delay_alu instid0(VALU_DEP_1)
	v_add_nc_u32_e32 v4, v13, v9
	global_load_b32 v14, v4, s[12:13] scale_offset
	s_cbranch_vccnz .LBB6_81
; %bb.78:                               ;   in Loop: Header=BB6_77 Depth=1
	s_wait_loadcnt 0x0
	v_cmp_gt_f32_e32 vcc_lo, 0, v14
	v_cndmask_b32_e64 v5, v14, -v14, vcc_lo
	s_delay_alu instid0(VALU_DEP_1) | instskip(NEXT) | instid1(VALU_DEP_1)
	v_cvt_f64_f32_e32 v[16:17], v5
	v_cmp_ge_f64_e32 vcc_lo, v[0:1], v[16:17]
	v_cndmask_b32_e64 v15, v14, s27, vcc_lo
	s_wait_xcnt 0x0
	s_and_saveexec_b32 s1, s0
	s_cbranch_execz .LBB6_80
; %bb.79:                               ;   in Loop: Header=BB6_77 Depth=1
	v_ashrrev_i32_e32 v5, 31, v4
	s_delay_alu instid0(VALU_DEP_1)
	v_lshl_add_u64 v[4:5], v[4:5], 2, s[12:13]
	global_store_b32 v[4:5], v15, off
.LBB6_80:                               ;   in Loop: Header=BB6_77 Depth=1
	s_wait_xcnt 0x0
	s_or_b32 exec_lo, exec_lo, s1
	s_mov_b32 s22, 0
	s_mov_b32 s1, -1
.LBB6_81:                               ;   in Loop: Header=BB6_77 Depth=1
	s_and_not1_b32 vcc_lo, exec_lo, s22
	s_cbranch_vccnz .LBB6_83
; %bb.82:                               ;   in Loop: Header=BB6_77 Depth=1
	s_wait_loadcnt 0x0
	v_cmp_neq_f32_e32 vcc_lo, 0, v14
	s_and_not1_b32 s1, s1, exec_lo
	s_mov_b32 s17, -1
	s_and_b32 s22, vcc_lo, exec_lo
	s_delay_alu instid0(SALU_CYCLE_1) | instskip(SKIP_2) | instid1(SALU_CYCLE_1)
	s_or_b32 s1, s1, s22
                                        ; implicit-def: $vgpr4
	s_wait_xcnt 0x0
	s_and_saveexec_b32 s22, s1
	s_xor_b32 s22, exec_lo, s22
	s_cbranch_execnz .LBB6_84
	s_branch .LBB6_105
.LBB6_83:                               ;   in Loop: Header=BB6_77 Depth=1
	s_wait_loadcnt 0x0
	v_mov_b32_e32 v14, v15
                                        ; implicit-def: $vgpr4
	s_wait_xcnt 0x0
	s_and_saveexec_b32 s22, s1
	s_delay_alu instid0(SALU_CYCLE_1)
	s_xor_b32 s22, exec_lo, s22
	s_cbranch_execz .LBB6_105
.LBB6_84:                               ;   in Loop: Header=BB6_77 Depth=1
	v_add_nc_u32_e32 v4, 1, v9
	s_mov_b32 s23, exec_lo
	s_delay_alu instid0(VALU_DEP_1) | instskip(NEXT) | instid1(VALU_DEP_1)
	v_add_nc_u32_e32 v5, v4, v10
	v_cmpx_gt_i32_e64 s7, v5
	s_cbranch_execz .LBB6_104
; %bb.85:                               ;   in Loop: Header=BB6_77 Depth=1
	v_cmp_gt_i32_e64 s1, s7, v4
	v_mov_b32_e32 v15, v8
	s_mov_b32 s25, 0
	s_branch .LBB6_87
.LBB6_86:                               ;   in Loop: Header=BB6_87 Depth=2
	s_wait_xcnt 0x0
	s_or_b32 exec_lo, exec_lo, s28
	v_dual_add_nc_u32 v5, 64, v5 :: v_dual_add_nc_u32 v15, s11, v15
	s_delay_alu instid0(VALU_DEP_1) | instskip(SKIP_1) | instid1(SALU_CYCLE_1)
	v_cmp_le_i32_e32 vcc_lo, s7, v5
	s_or_b32 s25, vcc_lo, s25
	s_and_not1_b32 exec_lo, exec_lo, s25
	s_cbranch_execz .LBB6_104
.LBB6_87:                               ;   Parent Loop BB6_77 Depth=1
                                        ; =>  This Loop Header: Depth=2
                                        ;       Child Loop BB6_96 Depth 3
	v_add_nc_u32_e32 v17, v5, v13
	s_and_b32 vcc_lo, exec_lo, s9
	s_cbranch_vccz .LBB6_102
; %bb.88:                               ;   in Loop: Header=BB6_87 Depth=2
	v_add_nc_u32_e32 v16, v5, v13
	s_cbranch_execnz .LBB6_90
.LBB6_89:                               ;   in Loop: Header=BB6_87 Depth=2
	v_add_nc_u32_e32 v16, v5, v6
	s_delay_alu instid0(VALU_DEP_1)
	v_mad_u32 v16, v16, s7, v9
.LBB6_90:                               ;   in Loop: Header=BB6_87 Depth=2
	global_load_b32 v16, v16, s[12:13] scale_offset
	s_and_b32 vcc_lo, exec_lo, s9
	s_cbranch_vccz .LBB6_103
; %bb.91:                               ;   in Loop: Header=BB6_87 Depth=2
	s_cbranch_execnz .LBB6_93
.LBB6_92:                               ;   in Loop: Header=BB6_87 Depth=2
	v_add_nc_u32_e32 v17, v5, v6
	s_delay_alu instid0(VALU_DEP_1)
	v_mad_u32 v17, v17, s7, v9
.LBB6_93:                               ;   in Loop: Header=BB6_87 Depth=2
	s_wait_loadcnt 0x0
	v_div_scale_f32 v18, null, v14, v14, v16
	s_delay_alu instid0(VALU_DEP_1) | instskip(SKIP_1) | instid1(TRANS32_DEP_1)
	v_rcp_f32_e32 v19, v18
	v_nop
	v_fma_f32 v20, -v18, v19, 1.0
	s_delay_alu instid0(VALU_DEP_1) | instskip(SKIP_1) | instid1(VALU_DEP_1)
	v_fmac_f32_e32 v19, v20, v19
	v_div_scale_f32 v20, vcc_lo, v16, v14, v16
	v_mul_f32_e32 v21, v20, v19
	s_delay_alu instid0(VALU_DEP_1) | instskip(NEXT) | instid1(VALU_DEP_1)
	v_fma_f32 v22, -v18, v21, v20
	v_fmac_f32_e32 v21, v22, v19
	s_delay_alu instid0(VALU_DEP_1) | instskip(NEXT) | instid1(VALU_DEP_1)
	v_fma_f32 v18, -v18, v21, v20
	v_div_fmas_f32 v18, v18, v19, v21
	s_wait_xcnt 0x0
	s_delay_alu instid0(VALU_DEP_1)
	v_div_fixup_f32 v16, v18, v14, v16
	global_store_b32 v17, v16, s[12:13] scale_offset
	s_wait_xcnt 0x0
	s_and_saveexec_b32 s28, s1
	s_cbranch_execz .LBB6_86
; %bb.94:                               ;   in Loop: Header=BB6_87 Depth=2
	v_dual_mov_b32 v17, v15 :: v_dual_mov_b32 v18, v7
	v_mov_b32_e32 v19, v4
	s_mov_b32 s29, s14
	s_branch .LBB6_96
.LBB6_95:                               ;   in Loop: Header=BB6_96 Depth=3
	s_wait_loadcnt 0x0
	s_wait_xcnt 0x1
	v_dual_fma_f32 v20, -v16, v20, v23 :: v_dual_add_nc_u32 v19, 1, v19
	v_dual_add_nc_u32 v18, 1, v18 :: v_dual_add_nc_u32 v17, 1, v17
	s_add_co_i32 s29, s29, -1
	global_store_b32 v21, v20, s[12:13] scale_offset
	s_cmp_eq_u32 s29, 0
	s_cbranch_scc1 .LBB6_86
.LBB6_96:                               ;   Parent Loop BB6_77 Depth=1
                                        ;     Parent Loop BB6_87 Depth=2
                                        ; =>    This Inner Loop Header: Depth=3
	s_wait_xcnt 0x0
	s_delay_alu instid0(VALU_DEP_1)
	v_dual_mov_b32 v20, v18 :: v_dual_add_nc_u32 v21, v19, v6
	s_and_not1_b32 vcc_lo, exec_lo, s9
	s_cbranch_vccnz .LBB6_98
; %bb.97:                               ;   in Loop: Header=BB6_96 Depth=3
	s_delay_alu instid0(VALU_DEP_1)
	v_mad_u32 v20, v21, s7, v9
.LBB6_98:                               ;   in Loop: Header=BB6_96 Depth=3
	global_load_b32 v20, v20, s[12:13] scale_offset
	v_mad_u32 v22, v21, s7, v5
	v_mov_b32_e32 v23, v17
	s_and_not1_b32 vcc_lo, exec_lo, s9
	s_cbranch_vccnz .LBB6_100
; %bb.99:                               ;   in Loop: Header=BB6_96 Depth=3
	v_mad_u32 v23, v21, s7, v5
.LBB6_100:                              ;   in Loop: Header=BB6_96 Depth=3
	global_load_b32 v23, v23, s[12:13] scale_offset
	v_mov_b32_e32 v21, v17
	s_and_not1_b32 vcc_lo, exec_lo, s9
	s_cbranch_vccnz .LBB6_95
; %bb.101:                              ;   in Loop: Header=BB6_96 Depth=3
	v_mov_b32_e32 v21, v22
	s_branch .LBB6_95
.LBB6_102:                              ;   in Loop: Header=BB6_87 Depth=2
                                        ; implicit-def: $vgpr16
	s_branch .LBB6_89
.LBB6_103:                              ;   in Loop: Header=BB6_87 Depth=2
                                        ; implicit-def: $vgpr17
	s_branch .LBB6_92
.LBB6_104:                              ;   in Loop: Header=BB6_77 Depth=1
	s_or_b32 exec_lo, exec_lo, s23
	s_delay_alu instid0(SALU_CYCLE_1)
	s_and_not1_b32 s17, s17, exec_lo
.LBB6_105:                              ;   in Loop: Header=BB6_77 Depth=1
	s_or_b32 exec_lo, exec_lo, s22
	s_delay_alu instid0(SALU_CYCLE_1) | instskip(SKIP_1) | instid1(SALU_CYCLE_1)
	s_and_not1_b32 s1, s16, exec_lo
	s_and_b32 s16, s16, exec_lo
	s_or_b32 s16, s1, s16
	s_and_saveexec_b32 s1, s17
	s_cbranch_execz .LBB6_76
; %bb.106:                              ;   in Loop: Header=BB6_77 Depth=1
	v_add_nc_u32_e32 v4, 1, v9
	s_or_b32 s16, s16, exec_lo
	s_branch .LBB6_76
.LBB6_107:
	s_or_b32 exec_lo, exec_lo, s8
	s_delay_alu instid0(SALU_CYCLE_1) | instskip(SKIP_1) | instid1(SALU_CYCLE_1)
	s_and_not1_b32 s0, s2, exec_lo
	s_and_b32 s1, s15, exec_lo
	s_or_b32 s2, s0, s1
.LBB6_108:
	s_or_b32 exec_lo, exec_lo, s4
	v_add_nc_u32_e32 v0, 1, v12
	s_mov_b32 s1, exec_lo
	s_delay_alu instid0(VALU_DEP_1)
	v_cmpx_lt_i32_e64 v0, v11
	s_cbranch_execz .LBB6_132
; %bb.109:
	v_mul_lo_u32 v1, v12, s7
	s_mul_i32 s4, s7, s7
	v_cmp_gt_i32_e64 s0, s7, v10
	s_wait_dscnt 0x0
	v_mul_lo_u32 v5, s4, v0
	s_cmp_lg_u32 s24, 0
	s_mov_b32 s8, 0
	s_cselect_b32 s9, -1, 0
	s_add_co_i32 s10, s7, 1
	s_add_co_i32 s11, s7, -1
	v_mad_u32 v4, s7, v1, s7
	s_delay_alu instid0(VALU_DEP_2)
	v_add3_u32 v5, v5, s7, v10
	s_branch .LBB6_111
.LBB6_110:                              ;   in Loop: Header=BB6_111 Depth=1
	s_delay_alu instid0(VALU_DEP_1) | instskip(NEXT) | instid1(VALU_DEP_1)
	v_dual_add_nc_u32 v0, 1, v0 :: v_dual_add_nc_u32 v5, s4, v5
	v_cmp_ge_i32_e32 vcc_lo, v0, v11
	s_or_b32 s8, vcc_lo, s8
	s_delay_alu instid0(SALU_CYCLE_1)
	s_and_not1_b32 exec_lo, exec_lo, s8
	s_cbranch_execz .LBB6_132
.LBB6_111:                              ; =>This Loop Header: Depth=1
                                        ;     Child Loop BB6_114 Depth 2
                                        ;       Child Loop BB6_117 Depth 3
                                        ;         Child Loop BB6_120 Depth 4
	s_and_not1_b32 vcc_lo, exec_lo, s3
	s_cbranch_vccnz .LBB6_110
; %bb.112:                              ;   in Loop: Header=BB6_111 Depth=1
	v_mul_lo_u32 v6, v0, s7
	s_delay_alu instid0(VALU_DEP_3)
	v_dual_mov_b32 v7, v5 :: v_dual_mov_b32 v8, v4
	s_mov_b32 s15, 0
	s_mov_b32 s14, s11
	s_branch .LBB6_114
.LBB6_113:                              ;   in Loop: Header=BB6_114 Depth=2
	s_or_b32 exec_lo, exec_lo, s17
	v_dual_add_nc_u32 v8, s10, v8 :: v_dual_add_nc_u32 v7, s7, v7
	s_add_co_i32 s14, s14, -1
	s_cmp_eq_u32 s16, s7
	s_mov_b32 s15, s16
	s_cbranch_scc1 .LBB6_110
.LBB6_114:                              ;   Parent Loop BB6_111 Depth=1
                                        ; =>  This Loop Header: Depth=2
                                        ;       Child Loop BB6_117 Depth 3
                                        ;         Child Loop BB6_120 Depth 4
	s_add_co_i32 s16, s15, 1
	s_and_saveexec_b32 s17, s0
	s_cbranch_execz .LBB6_113
; %bb.115:                              ;   in Loop: Header=BB6_114 Depth=2
	s_delay_alu instid0(VALU_DEP_2) | instskip(SKIP_2) | instid1(VALU_DEP_2)
	v_dual_add_nc_u32 v9, s15, v1 :: v_dual_add_nc_u32 v12, s15, v6
	v_dual_mov_b32 v13, v7 :: v_dual_mov_b32 v14, v10
	s_cmp_lt_i32 s16, s7
	v_mul_lo_u32 v9, v9, s7
	s_delay_alu instid0(VALU_DEP_3)
	v_mul_lo_u32 v12, v12, s7
	s_cselect_b32 s22, -1, 0
	s_mov_b32 s23, 0
	s_branch .LBB6_117
.LBB6_116:                              ;   in Loop: Header=BB6_117 Depth=3
	v_dual_add_nc_u32 v14, 64, v14 :: v_dual_add_nc_u32 v13, 64, v13
	s_delay_alu instid0(VALU_DEP_1)
	v_cmp_le_i32_e32 vcc_lo, s7, v14
	s_or_b32 s23, vcc_lo, s23
	s_wait_xcnt 0x0
	s_and_not1_b32 exec_lo, exec_lo, s23
	s_cbranch_execz .LBB6_113
.LBB6_117:                              ;   Parent Loop BB6_111 Depth=1
                                        ;     Parent Loop BB6_114 Depth=2
                                        ; =>    This Loop Header: Depth=3
                                        ;         Child Loop BB6_120 Depth 4
	s_and_not1_b32 vcc_lo, exec_lo, s22
	s_cbranch_vccnz .LBB6_116
; %bb.118:                              ;   in Loop: Header=BB6_117 Depth=3
	s_delay_alu instid0(VALU_DEP_1) | instskip(SKIP_3) | instid1(VALU_DEP_1)
	v_dual_add_nc_u32 v15, v14, v6 :: v_dual_add_nc_u32 v17, v14, v12
	s_mov_b32 s24, 0
	s_mov_b32 s25, s14
	;; [unrolled: 1-line block ×3, first 2 shown]
	v_mul_lo_u32 v15, v15, s7
	s_delay_alu instid0(VALU_DEP_1)
	v_add_nc_u32_e32 v16, s15, v15
	s_branch .LBB6_120
.LBB6_119:                              ;   in Loop: Header=BB6_120 Depth=4
	s_wait_loadcnt 0x0
	v_fma_f32 v18, -v18, v19, v22
	s_add_co_i32 s25, s25, -1
	s_add_co_i32 s26, s26, 1
	s_add_co_i32 s24, s24, s7
	s_cmp_eq_u32 s25, 0
	global_store_b32 v20, v18, s[12:13] scale_offset
	s_cbranch_scc1 .LBB6_116
.LBB6_120:                              ;   Parent Loop BB6_111 Depth=1
                                        ;     Parent Loop BB6_114 Depth=2
                                        ;       Parent Loop BB6_117 Depth=3
                                        ; =>      This Inner Loop Header: Depth=4
	s_and_b32 vcc_lo, exec_lo, s9
	s_cbranch_vccz .LBB6_128
; %bb.121:                              ;   in Loop: Header=BB6_120 Depth=4
	s_wait_xcnt 0x0
	v_add_nc_u32_e32 v20, s26, v9
	v_mov_b32_e32 v21, v16
	s_cbranch_execnz .LBB6_123
.LBB6_122:                              ;   in Loop: Header=BB6_120 Depth=4
	s_wait_xcnt 0x0
	v_dual_mov_b32 v21, v17 :: v_dual_add_nc_u32 v20, s24, v8
.LBB6_123:                              ;   in Loop: Header=BB6_120 Depth=4
	s_clause 0x1
	global_load_b32 v18, v20, s[12:13] scale_offset
	global_load_b32 v19, v21, s[12:13] scale_offset
	s_wait_xcnt 0x1
	v_add_nc_u32_e32 v20, s26, v15
	s_and_b32 vcc_lo, exec_lo, s9
	s_cbranch_vccz .LBB6_129
; %bb.124:                              ;   in Loop: Header=BB6_120 Depth=4
	v_add_nc_u32_e32 v22, s26, v15
	s_wait_xcnt 0x0
	v_add_nc_u32_e32 v21, s24, v13
	s_cbranch_execnz .LBB6_126
.LBB6_125:                              ;   in Loop: Header=BB6_120 Depth=4
	v_add_nc_u32_e32 v22, s24, v13
.LBB6_126:                              ;   in Loop: Header=BB6_120 Depth=4
	global_load_b32 v22, v22, s[12:13] scale_offset
	s_and_b32 vcc_lo, exec_lo, s9
	s_cbranch_vccz .LBB6_130
; %bb.127:                              ;   in Loop: Header=BB6_120 Depth=4
	s_cbranch_execnz .LBB6_119
	s_branch .LBB6_131
.LBB6_128:                              ;   in Loop: Header=BB6_120 Depth=4
                                        ; implicit-def: $vgpr20
	s_delay_alu instid0(VALU_DEP_1)
	v_mov_b32_e32 v21, v16
	s_branch .LBB6_122
.LBB6_129:                              ;   in Loop: Header=BB6_120 Depth=4
                                        ; implicit-def: $vgpr22
	s_wait_xcnt 0x0
	v_add_nc_u32_e32 v21, s24, v13
	s_branch .LBB6_125
.LBB6_130:                              ;   in Loop: Header=BB6_120 Depth=4
                                        ; implicit-def: $vgpr20
.LBB6_131:                              ;   in Loop: Header=BB6_120 Depth=4
	v_mov_b32_e32 v20, v21
	s_branch .LBB6_119
.LBB6_132:
	s_or_b32 exec_lo, exec_lo, s1
	s_delay_alu instid0(SALU_CYCLE_1)
	s_or_not1_b32 s2, s2, exec_lo
.LBB6_133:
	s_or_b32 exec_lo, exec_lo, s5
	v_cmp_eq_u32_e32 vcc_lo, 0, v10
	s_and_b32 exec_lo, exec_lo, vcc_lo
	s_cbranch_execz .LBB6_139
; %bb.134:
	v_lshl_add_u64 v[0:1], v[2:3], 2, s[20:21]
	v_mov_b32_e32 v3, 1
	global_wb scope:SCOPE_DEV
	s_wait_storecnt_dscnt 0x0
	global_store_b32 v[0:1], v3, off scope:SCOPE_DEV
	s_wait_xcnt 0x0
	s_and_b32 exec_lo, exec_lo, s2
	s_cbranch_execz .LBB6_139
; %bb.135:
	v_add_nc_u32_e32 v0, s6, v2
	s_mov_b32 s1, exec_lo
	s_brev_b32 s0, -2
.LBB6_136:                              ; =>This Inner Loop Header: Depth=1
	s_ctz_i32_b32 s2, s1
	s_delay_alu instid0(VALU_DEP_1) | instid1(SALU_CYCLE_1)
	v_readlane_b32 s3, v0, s2
	s_lshl_b32 s2, 1, s2
	s_delay_alu instid0(SALU_CYCLE_1)
	s_and_not1_b32 s1, s1, s2
	s_min_i32 s0, s0, s3
	s_cmp_lg_u32 s1, 0
	s_cbranch_scc1 .LBB6_136
; %bb.137:
	v_mbcnt_lo_u32_b32 v0, exec_lo, 0
	s_mov_b32 s1, exec_lo
	s_delay_alu instid0(VALU_DEP_1)
	v_cmpx_eq_u32_e32 0, v0
	s_xor_b32 s1, exec_lo, s1
	s_cbranch_execz .LBB6_139
; %bb.138:
	v_dual_mov_b32 v0, 0 :: v_dual_mov_b32 v1, s0
	global_atomic_min_i32 v0, v1, s[18:19] scope:SCOPE_DEV
.LBB6_139:
	s_endpgm
	.section	.rodata,"a",@progbits
	.p2align	6, 0x0
	.amdhsa_kernel _ZN9rocsparseL15bsrilu0_generalILj128ELj64ELb0EfEEv20rocsparse_direction_iPKiS3_PT2_S3_iPiS3_S6_21rocsparse_index_base_imNS_24const_host_device_scalarIfEENS8_IdEENS8_IS4_EEb
		.amdhsa_group_segment_fixed_size 0
		.amdhsa_private_segment_fixed_size 0
		.amdhsa_kernarg_size 116
		.amdhsa_user_sgpr_count 2
		.amdhsa_user_sgpr_dispatch_ptr 0
		.amdhsa_user_sgpr_queue_ptr 0
		.amdhsa_user_sgpr_kernarg_segment_ptr 1
		.amdhsa_user_sgpr_dispatch_id 0
		.amdhsa_user_sgpr_kernarg_preload_length 0
		.amdhsa_user_sgpr_kernarg_preload_offset 0
		.amdhsa_user_sgpr_private_segment_size 0
		.amdhsa_wavefront_size32 1
		.amdhsa_uses_dynamic_stack 0
		.amdhsa_enable_private_segment 0
		.amdhsa_system_sgpr_workgroup_id_x 1
		.amdhsa_system_sgpr_workgroup_id_y 0
		.amdhsa_system_sgpr_workgroup_id_z 0
		.amdhsa_system_sgpr_workgroup_info 0
		.amdhsa_system_vgpr_workitem_id 0
		.amdhsa_next_free_vgpr 33
		.amdhsa_next_free_sgpr 46
		.amdhsa_named_barrier_count 0
		.amdhsa_reserve_vcc 1
		.amdhsa_float_round_mode_32 0
		.amdhsa_float_round_mode_16_64 0
		.amdhsa_float_denorm_mode_32 3
		.amdhsa_float_denorm_mode_16_64 3
		.amdhsa_fp16_overflow 0
		.amdhsa_memory_ordered 1
		.amdhsa_forward_progress 1
		.amdhsa_inst_pref_size 31
		.amdhsa_round_robin_scheduling 0
		.amdhsa_exception_fp_ieee_invalid_op 0
		.amdhsa_exception_fp_denorm_src 0
		.amdhsa_exception_fp_ieee_div_zero 0
		.amdhsa_exception_fp_ieee_overflow 0
		.amdhsa_exception_fp_ieee_underflow 0
		.amdhsa_exception_fp_ieee_inexact 0
		.amdhsa_exception_int_div_zero 0
	.end_amdhsa_kernel
	.section	.text._ZN9rocsparseL15bsrilu0_generalILj128ELj64ELb0EfEEv20rocsparse_direction_iPKiS3_PT2_S3_iPiS3_S6_21rocsparse_index_base_imNS_24const_host_device_scalarIfEENS8_IdEENS8_IS4_EEb,"axG",@progbits,_ZN9rocsparseL15bsrilu0_generalILj128ELj64ELb0EfEEv20rocsparse_direction_iPKiS3_PT2_S3_iPiS3_S6_21rocsparse_index_base_imNS_24const_host_device_scalarIfEENS8_IdEENS8_IS4_EEb,comdat
.Lfunc_end6:
	.size	_ZN9rocsparseL15bsrilu0_generalILj128ELj64ELb0EfEEv20rocsparse_direction_iPKiS3_PT2_S3_iPiS3_S6_21rocsparse_index_base_imNS_24const_host_device_scalarIfEENS8_IdEENS8_IS4_EEb, .Lfunc_end6-_ZN9rocsparseL15bsrilu0_generalILj128ELj64ELb0EfEEv20rocsparse_direction_iPKiS3_PT2_S3_iPiS3_S6_21rocsparse_index_base_imNS_24const_host_device_scalarIfEENS8_IdEENS8_IS4_EEb
                                        ; -- End function
	.set _ZN9rocsparseL15bsrilu0_generalILj128ELj64ELb0EfEEv20rocsparse_direction_iPKiS3_PT2_S3_iPiS3_S6_21rocsparse_index_base_imNS_24const_host_device_scalarIfEENS8_IdEENS8_IS4_EEb.num_vgpr, 33
	.set _ZN9rocsparseL15bsrilu0_generalILj128ELj64ELb0EfEEv20rocsparse_direction_iPKiS3_PT2_S3_iPiS3_S6_21rocsparse_index_base_imNS_24const_host_device_scalarIfEENS8_IdEENS8_IS4_EEb.num_agpr, 0
	.set _ZN9rocsparseL15bsrilu0_generalILj128ELj64ELb0EfEEv20rocsparse_direction_iPKiS3_PT2_S3_iPiS3_S6_21rocsparse_index_base_imNS_24const_host_device_scalarIfEENS8_IdEENS8_IS4_EEb.numbered_sgpr, 46
	.set _ZN9rocsparseL15bsrilu0_generalILj128ELj64ELb0EfEEv20rocsparse_direction_iPKiS3_PT2_S3_iPiS3_S6_21rocsparse_index_base_imNS_24const_host_device_scalarIfEENS8_IdEENS8_IS4_EEb.num_named_barrier, 0
	.set _ZN9rocsparseL15bsrilu0_generalILj128ELj64ELb0EfEEv20rocsparse_direction_iPKiS3_PT2_S3_iPiS3_S6_21rocsparse_index_base_imNS_24const_host_device_scalarIfEENS8_IdEENS8_IS4_EEb.private_seg_size, 0
	.set _ZN9rocsparseL15bsrilu0_generalILj128ELj64ELb0EfEEv20rocsparse_direction_iPKiS3_PT2_S3_iPiS3_S6_21rocsparse_index_base_imNS_24const_host_device_scalarIfEENS8_IdEENS8_IS4_EEb.uses_vcc, 1
	.set _ZN9rocsparseL15bsrilu0_generalILj128ELj64ELb0EfEEv20rocsparse_direction_iPKiS3_PT2_S3_iPiS3_S6_21rocsparse_index_base_imNS_24const_host_device_scalarIfEENS8_IdEENS8_IS4_EEb.uses_flat_scratch, 0
	.set _ZN9rocsparseL15bsrilu0_generalILj128ELj64ELb0EfEEv20rocsparse_direction_iPKiS3_PT2_S3_iPiS3_S6_21rocsparse_index_base_imNS_24const_host_device_scalarIfEENS8_IdEENS8_IS4_EEb.has_dyn_sized_stack, 0
	.set _ZN9rocsparseL15bsrilu0_generalILj128ELj64ELb0EfEEv20rocsparse_direction_iPKiS3_PT2_S3_iPiS3_S6_21rocsparse_index_base_imNS_24const_host_device_scalarIfEENS8_IdEENS8_IS4_EEb.has_recursion, 0
	.set _ZN9rocsparseL15bsrilu0_generalILj128ELj64ELb0EfEEv20rocsparse_direction_iPKiS3_PT2_S3_iPiS3_S6_21rocsparse_index_base_imNS_24const_host_device_scalarIfEENS8_IdEENS8_IS4_EEb.has_indirect_call, 0
	.section	.AMDGPU.csdata,"",@progbits
; Kernel info:
; codeLenInByte = 3920
; TotalNumSgprs: 48
; NumVgprs: 33
; ScratchSize: 0
; MemoryBound: 0
; FloatMode: 240
; IeeeMode: 1
; LDSByteSize: 0 bytes/workgroup (compile time only)
; SGPRBlocks: 0
; VGPRBlocks: 2
; NumSGPRsForWavesPerEU: 48
; NumVGPRsForWavesPerEU: 33
; NamedBarCnt: 0
; Occupancy: 16
; WaveLimiterHint : 1
; COMPUTE_PGM_RSRC2:SCRATCH_EN: 0
; COMPUTE_PGM_RSRC2:USER_SGPR: 2
; COMPUTE_PGM_RSRC2:TRAP_HANDLER: 0
; COMPUTE_PGM_RSRC2:TGID_X_EN: 1
; COMPUTE_PGM_RSRC2:TGID_Y_EN: 0
; COMPUTE_PGM_RSRC2:TGID_Z_EN: 0
; COMPUTE_PGM_RSRC2:TIDIG_COMP_CNT: 0
	.section	.text._ZN9rocsparseL15bsrilu0_generalILj128ELj64ELb1EdEEv20rocsparse_direction_iPKiS3_PT2_S3_iPiS3_S6_21rocsparse_index_base_imNS_24const_host_device_scalarIfEENS8_IdEENS8_IS4_EEb,"axG",@progbits,_ZN9rocsparseL15bsrilu0_generalILj128ELj64ELb1EdEEv20rocsparse_direction_iPKiS3_PT2_S3_iPiS3_S6_21rocsparse_index_base_imNS_24const_host_device_scalarIfEENS8_IdEENS8_IS4_EEb,comdat
	.globl	_ZN9rocsparseL15bsrilu0_generalILj128ELj64ELb1EdEEv20rocsparse_direction_iPKiS3_PT2_S3_iPiS3_S6_21rocsparse_index_base_imNS_24const_host_device_scalarIfEENS8_IdEENS8_IS4_EEb ; -- Begin function _ZN9rocsparseL15bsrilu0_generalILj128ELj64ELb1EdEEv20rocsparse_direction_iPKiS3_PT2_S3_iPiS3_S6_21rocsparse_index_base_imNS_24const_host_device_scalarIfEENS8_IdEENS8_IS4_EEb
	.p2align	8
	.type	_ZN9rocsparseL15bsrilu0_generalILj128ELj64ELb1EdEEv20rocsparse_direction_iPKiS3_PT2_S3_iPiS3_S6_21rocsparse_index_base_imNS_24const_host_device_scalarIfEENS8_IdEENS8_IS4_EEb,@function
_ZN9rocsparseL15bsrilu0_generalILj128ELj64ELb1EdEEv20rocsparse_direction_iPKiS3_PT2_S3_iPiS3_S6_21rocsparse_index_base_imNS_24const_host_device_scalarIfEENS8_IdEENS8_IS4_EEb: ; @_ZN9rocsparseL15bsrilu0_generalILj128ELj64ELb1EdEEv20rocsparse_direction_iPKiS3_PT2_S3_iPiS3_S6_21rocsparse_index_base_imNS_24const_host_device_scalarIfEENS8_IdEENS8_IS4_EEb
; %bb.0:
	s_clause 0x2
	s_load_b32 s2, s[0:1], 0x70
	s_load_b64 s[6:7], s[0:1], 0x48
	s_load_b256 s[16:23], s[0:1], 0x50
	s_wait_kmcnt 0x0
	s_bitcmp1_b32 s2, 0
	s_cselect_b32 s2, -1, 0
	s_cmp_eq_u32 s7, 0
	s_cselect_b32 s4, -1, 0
	s_cmp_lg_u32 s7, 0
	s_cselect_b32 s26, -1, 0
	s_or_b32 s7, s4, s2
	s_delay_alu instid0(SALU_CYCLE_1)
	s_xor_b32 s5, s7, -1
	s_and_b32 s2, s4, exec_lo
	s_cselect_b32 s3, 0, s21
	s_cselect_b32 s2, 0, s20
	;; [unrolled: 1-line block ×3, first 2 shown]
	s_and_b32 vcc_lo, exec_lo, s7
	s_cbranch_vccnz .LBB7_2
; %bb.1:
	s_load_b32 s27, s[18:19], 0x0
	s_mov_b64 s[2:3], s[20:21]
.LBB7_2:
	s_delay_alu instid0(SALU_CYCLE_1)
	v_mov_b64_e32 v[6:7], s[2:3]
	v_cndmask_b32_e64 v1, 0, 1, s5
	s_and_not1_b32 vcc_lo, exec_lo, s5
	s_cbranch_vccnz .LBB7_4
; %bb.3:
	v_mov_b32_e32 v2, 0
	flat_load_b64 v[6:7], v2, s[20:21]
.LBB7_4:
	s_and_b32 s2, s4, exec_lo
	s_cselect_b32 s3, 0, s23
	s_cselect_b32 s2, 0, s22
	v_cmp_ne_u32_e32 vcc_lo, 1, v1
	v_mov_b64_e32 v[4:5], s[2:3]
	s_cbranch_vccnz .LBB7_6
; %bb.5:
	v_mov_b32_e32 v1, 0
	flat_load_b64 v[4:5], v1, s[22:23]
.LBB7_6:
	s_load_b64 s[24:25], s[0:1], 0x0
	s_bfe_u32 s2, ttmp6, 0x4000c
	s_and_b32 s3, ttmp6, 15
	s_add_co_i32 s2, s2, 1
	s_getreg_b32 s4, hwreg(HW_REG_IB_STS2, 6, 4)
	s_mul_i32 s2, ttmp9, s2
	v_lshrrev_b32_e32 v1, 6, v0
	s_add_co_i32 s3, s3, s2
	s_cmp_eq_u32 s4, 0
	s_cselect_b32 s2, ttmp9, s3
	s_delay_alu instid0(SALU_CYCLE_1) | instskip(NEXT) | instid1(SALU_CYCLE_1)
	s_lshl_b32 s2, s2, 1
	v_and_or_b32 v1, 0x3fffffe, s2, v1
	s_mov_b32 s2, exec_lo
	s_wait_kmcnt 0x0
	s_delay_alu instid0(VALU_DEP_1)
	v_cmpx_gt_i32_e64 s25, v1
	s_cbranch_execz .LBB7_141
; %bb.7:
	s_clause 0x2
	s_load_b128 s[20:23], s[0:1], 0x30
	s_load_b64 s[18:19], s[0:1], 0x40
	s_load_b256 s[8:15], s[0:1], 0x8
	s_mov_b32 s2, -1
	s_mov_b32 s5, exec_lo
	s_wait_kmcnt 0x0
	global_load_b32 v2, v1, s[22:23] scale_offset
	s_wait_loadcnt 0x0
	v_dual_ashrrev_i32 v3, 31, v2 :: v_dual_bitop2_b32 v18, 63, v0 bitop3:0x40
	global_load_b32 v20, v2, s[14:15] scale_offset
	s_wait_loadcnt 0x0
	v_cmpx_ne_u32_e32 -1, v20
	s_cbranch_execz .LBB7_135
; %bb.8:
	v_lshl_add_u64 v[0:1], v[2:3], 2, s[8:9]
	s_load_b32 s7, s[0:1], 0x28
	s_mov_b32 s2, 0
	s_mov_b32 s22, exec_lo
	global_load_b64 v[0:1], v[0:1], off
	s_wait_loadcnt 0x0
	v_subrev_nc_u32_e32 v21, s6, v0
	v_subrev_nc_u32_e32 v19, s6, v1
	s_delay_alu instid0(VALU_DEP_2)
	v_cmpx_lt_i32_e64 v21, v20
	s_cbranch_execz .LBB7_76
; %bb.9:
	s_wait_kmcnt 0x0
	v_mad_u32 v1, s7, v21, v18
	v_add_nc_u32_e32 v0, v21, v18
	s_cmp_gt_i32 s7, 0
	v_cmp_gt_i32_e64 s0, s7, v18
	v_cmp_le_i32_e64 s1, s7, v18
	s_cselect_b32 s28, -1, 0
	v_cmp_lt_i32_e64 s2, v0, v19
	s_cmp_lg_u32 s24, 0
	s_mov_b32 s34, 0
	s_mul_i32 s23, s7, s7
	s_cselect_b32 s29, -1, 0
	v_mul_lo_u32 v22, s7, v1
	v_ashrrev_i32_e32 v1, 31, v0
	s_add_co_i32 s25, s25, 1
	s_add_co_i32 s30, s7, 1
	s_lshl_b32 s31, s7, 6
	s_add_co_i32 s33, s7, -1
	v_lshl_add_u64 v[8:9], v[0:1], 2, s[10:11]
	s_mov_b32 s35, 0
                                        ; implicit-def: $sgpr36
                                        ; implicit-def: $sgpr37
	s_delay_alu instid0(VALU_DEP_3)
	v_add_nc_u32_e32 v1, 1, v22
	s_branch .LBB7_12
.LBB7_10:                               ;   in Loop: Header=BB7_12 Depth=1
	s_or_b32 exec_lo, exec_lo, s4
	s_delay_alu instid0(SALU_CYCLE_1) | instskip(SKIP_1) | instid1(SALU_CYCLE_1)
	s_and_not1_b32 s4, s37, exec_lo
	s_and_b32 s34, s34, exec_lo
	s_or_b32 s37, s4, s34
.LBB7_11:                               ;   in Loop: Header=BB7_12 Depth=1
	s_or_b32 exec_lo, exec_lo, s38
	v_dual_add_nc_u32 v21, 1, v21 :: v_dual_add_nc_u32 v22, s23, v22
	s_xor_b32 s3, s3, -1
	v_add_nc_u32_e32 v1, s23, v1
	s_mov_b32 s34, s37
	s_delay_alu instid0(VALU_DEP_2) | instskip(SKIP_1) | instid1(SALU_CYCLE_1)
	v_cmp_ge_i32_e32 vcc_lo, v21, v20
	s_or_b32 s3, s3, vcc_lo
	s_and_b32 s3, exec_lo, s3
	s_delay_alu instid0(SALU_CYCLE_1) | instskip(SKIP_2) | instid1(SALU_CYCLE_1)
	s_or_b32 s35, s3, s35
	s_and_not1_b32 s3, s36, exec_lo
	s_and_b32 s4, s37, exec_lo
	s_or_b32 s36, s3, s4
	s_and_not1_b32 exec_lo, exec_lo, s35
	s_cbranch_execz .LBB7_75
.LBB7_12:                               ; =>This Loop Header: Depth=1
                                        ;     Child Loop BB7_16 Depth 2
                                        ;       Child Loop BB7_17 Depth 3
                                        ;     Child Loop BB7_22 Depth 2
                                        ;       Child Loop BB7_27 Depth 3
                                        ;         Child Loop BB7_36 Depth 4
                                        ;     Child Loop BB7_49 Depth 2
                                        ;       Child Loop BB7_54 Depth 3
                                        ;       Child Loop BB7_61 Depth 3
                                        ;         Child Loop BB7_63 Depth 4
                                        ;           Child Loop BB7_65 Depth 5
	s_wait_dscnt 0x0
	global_load_b32 v10, v21, s[10:11] scale_offset
	s_or_b32 s37, s37, exec_lo
	s_wait_loadcnt 0x0
	v_subrev_nc_u32_e32 v10, s6, v10
	global_load_b32 v24, v10, s[14:15] scale_offset
	s_wait_loadcnt 0x0
	v_cmp_ne_u32_e64 s3, -1, v24
	s_wait_xcnt 0x0
	s_and_saveexec_b32 s38, s3
	s_cbranch_execz .LBB7_11
; %bb.13:                               ;   in Loop: Header=BB7_12 Depth=1
	v_ashrrev_i32_e32 v11, 31, v10
	s_mov_b32 s4, exec_lo
	s_delay_alu instid0(VALU_DEP_1) | instskip(NEXT) | instid1(VALU_DEP_1)
	v_lshlrev_b64_e32 v[10:11], 2, v[10:11]
	v_add_nc_u64_e32 v[12:13], s[8:9], v[10:11]
	v_add_nc_u64_e32 v[10:11], s[20:21], v[10:11]
	global_load_b32 v25, v[12:13], off offset:4
	global_load_b32 v14, v[10:11], off scope:SCOPE_DEV
	s_wait_loadcnt 0x0
	s_wait_xcnt 0x0
	v_cmpx_eq_u32_e32 0, v14
	s_cbranch_execz .LBB7_18
; %bb.14:                               ;   in Loop: Header=BB7_12 Depth=1
	s_mov_b32 s39, 0
	s_mov_b32 s40, 0
	s_branch .LBB7_16
.LBB7_15:                               ;   in Loop: Header=BB7_16 Depth=2
	global_load_b32 v12, v[10:11], off scope:SCOPE_DEV
	s_cmp_lt_u32 s40, 0xf43
	s_cselect_b32 s41, -1, 0
	s_delay_alu instid0(SALU_CYCLE_1)
	s_cmp_lg_u32 s41, 0
	s_add_co_ci_u32 s40, s40, 0
	s_wait_loadcnt 0x0
	v_cmp_ne_u32_e32 vcc_lo, 0, v12
	s_or_b32 s39, vcc_lo, s39
	s_wait_xcnt 0x0
	s_and_not1_b32 exec_lo, exec_lo, s39
	s_cbranch_execz .LBB7_18
.LBB7_16:                               ;   Parent Loop BB7_12 Depth=1
                                        ; =>  This Loop Header: Depth=2
                                        ;       Child Loop BB7_17 Depth 3
	s_cmp_eq_u32 s40, 0
	s_mov_b32 s41, s40
	s_cbranch_scc1 .LBB7_15
.LBB7_17:                               ;   Parent Loop BB7_12 Depth=1
                                        ;     Parent Loop BB7_16 Depth=2
                                        ; =>    This Inner Loop Header: Depth=3
	s_add_co_i32 s41, s41, -1
	s_sleep 1
	s_cmp_eq_u32 s41, 0
	s_cbranch_scc0 .LBB7_17
	s_branch .LBB7_15
.LBB7_18:                               ;   in Loop: Header=BB7_12 Depth=1
	s_or_b32 exec_lo, exec_lo, s4
	v_mul_lo_u32 v23, v21, s7
	s_and_not1_b32 vcc_lo, exec_lo, s28
	s_wait_dscnt 0x0
	global_inv scope:SCOPE_DEV
	s_cbranch_vccnz .LBB7_45
; %bb.19:                               ;   in Loop: Header=BB7_12 Depth=1
	v_mul_lo_u32 v26, v24, s7
	v_mad_u32 v27, s23, v24, 1
	v_dual_mov_b32 v28, 0 :: v_dual_mov_b32 v29, v1
	s_mov_b32 s39, 0
	s_mov_b32 s40, s33
	s_branch .LBB7_22
.LBB7_20:                               ;   in Loop: Header=BB7_22 Depth=2
	s_or_b32 exec_lo, exec_lo, s42
	v_mov_b32_e32 v28, v30
.LBB7_21:                               ;   in Loop: Header=BB7_22 Depth=2
	s_or_b32 exec_lo, exec_lo, s41
	s_delay_alu instid0(VALU_DEP_1) | instskip(SKIP_3) | instid1(SALU_CYCLE_1)
	v_cmp_eq_u32_e32 vcc_lo, s7, v28
	v_dual_add_nc_u32 v27, s30, v27 :: v_dual_add_nc_u32 v29, 1, v29
	s_add_co_i32 s40, s40, -1
	s_or_b32 s39, vcc_lo, s39
	s_and_not1_b32 exec_lo, exec_lo, s39
	s_cbranch_execz .LBB7_44
.LBB7_22:                               ;   Parent Loop BB7_12 Depth=1
                                        ; =>  This Loop Header: Depth=2
                                        ;       Child Loop BB7_27 Depth 3
                                        ;         Child Loop BB7_36 Depth 4
	s_delay_alu instid0(VALU_DEP_1) | instskip(SKIP_1) | instid1(SALU_CYCLE_1)
	v_add_nc_u32_e32 v30, 1, v28
	s_and_saveexec_b32 s4, s1
	s_xor_b32 s4, exec_lo, s4
; %bb.23:                               ;   in Loop: Header=BB7_22 Depth=2
	v_add_nc_u32_e32 v28, 1, v28
                                        ; implicit-def: $vgpr30
; %bb.24:                               ;   in Loop: Header=BB7_22 Depth=2
	s_and_not1_saveexec_b32 s41, s4
	s_cbranch_execz .LBB7_21
; %bb.25:                               ;   in Loop: Header=BB7_22 Depth=2
	s_delay_alu instid0(VALU_DEP_1) | instskip(SKIP_2) | instid1(VALU_DEP_3)
	v_dual_add_nc_u32 v10, v28, v26 :: v_dual_add_nc_u32 v12, v28, v23
	v_cmp_gt_i32_e64 s4, s7, v30
	v_dual_mov_b32 v32, v29 :: v_dual_mov_b32 v33, v18
	v_mad_u32 v10, v10, s7, v28
	s_delay_alu instid0(VALU_DEP_4)
	v_mul_lo_u32 v31, v12, s7
	s_mov_b32 s42, 0
	global_load_b64 v[10:11], v10, s[12:13] scale_offset
	s_branch .LBB7_27
.LBB7_26:                               ;   in Loop: Header=BB7_27 Depth=3
	s_wait_xcnt 0x0
	s_or_b32 exec_lo, exec_lo, s43
	v_dual_add_nc_u32 v33, 64, v33 :: v_dual_add_nc_u32 v32, s31, v32
	s_delay_alu instid0(VALU_DEP_1) | instskip(SKIP_1) | instid1(SALU_CYCLE_1)
	v_cmp_le_i32_e32 vcc_lo, s7, v33
	s_or_b32 s42, vcc_lo, s42
	s_and_not1_b32 exec_lo, exec_lo, s42
	s_cbranch_execz .LBB7_20
.LBB7_27:                               ;   Parent Loop BB7_12 Depth=1
                                        ;     Parent Loop BB7_22 Depth=2
                                        ; =>    This Loop Header: Depth=3
                                        ;         Child Loop BB7_36 Depth 4
	v_add_nc_u32_e32 v14, v33, v31
	s_and_b32 vcc_lo, exec_lo, s29
	s_cbranch_vccz .LBB7_42
; %bb.28:                               ;   in Loop: Header=BB7_27 Depth=3
	v_add_nc_u32_e32 v12, v33, v31
	v_add_nc_u32_e32 v13, v33, v23
	s_delay_alu instid0(VALU_DEP_1)
	v_mad_u32 v15, v13, s7, v28
	s_cbranch_execnz .LBB7_30
.LBB7_29:                               ;   in Loop: Header=BB7_27 Depth=3
	v_mad_u32 v12, v13, s7, v28
.LBB7_30:                               ;   in Loop: Header=BB7_27 Depth=3
	global_load_b64 v[12:13], v12, s[12:13] scale_offset
	s_and_b32 vcc_lo, exec_lo, s29
	s_cbranch_vccz .LBB7_43
; %bb.31:                               ;   in Loop: Header=BB7_27 Depth=3
	s_cbranch_execnz .LBB7_33
.LBB7_32:                               ;   in Loop: Header=BB7_27 Depth=3
	v_mov_b32_e32 v14, v15
.LBB7_33:                               ;   in Loop: Header=BB7_27 Depth=3
	s_wait_loadcnt 0x0
	v_div_scale_f64 v[16:17], null, v[10:11], v[10:11], v[12:13]
	s_delay_alu instid0(VALU_DEP_1) | instskip(SKIP_1) | instid1(TRANS32_DEP_1)
	v_rcp_f64_e32 v[34:35], v[16:17]
	v_nop
	v_fma_f64 v[36:37], -v[16:17], v[34:35], 1.0
	s_delay_alu instid0(VALU_DEP_1) | instskip(NEXT) | instid1(VALU_DEP_1)
	v_fmac_f64_e32 v[34:35], v[34:35], v[36:37]
	v_fma_f64 v[36:37], -v[16:17], v[34:35], 1.0
	s_delay_alu instid0(VALU_DEP_1) | instskip(SKIP_1) | instid1(VALU_DEP_1)
	v_fmac_f64_e32 v[34:35], v[34:35], v[36:37]
	v_div_scale_f64 v[36:37], vcc_lo, v[12:13], v[10:11], v[12:13]
	v_mul_f64_e32 v[38:39], v[36:37], v[34:35]
	s_delay_alu instid0(VALU_DEP_1) | instskip(NEXT) | instid1(VALU_DEP_1)
	v_fma_f64 v[16:17], -v[16:17], v[38:39], v[36:37]
	v_div_fmas_f64 v[16:17], v[16:17], v[34:35], v[38:39]
	s_wait_xcnt 0x0
	s_delay_alu instid0(VALU_DEP_1)
	v_div_fixup_f64 v[12:13], v[16:17], v[10:11], v[12:13]
	global_store_b64 v14, v[12:13], s[12:13] scale_offset
	s_wait_xcnt 0x0
	s_and_saveexec_b32 s43, s4
	s_cbranch_execz .LBB7_26
; %bb.34:                               ;   in Loop: Header=BB7_27 Depth=3
	v_dual_mov_b32 v34, v32 :: v_dual_mov_b32 v35, v27
	v_mov_b32_e32 v36, v30
	s_mov_b32 s44, s40
	s_branch .LBB7_36
.LBB7_35:                               ;   in Loop: Header=BB7_36 Depth=4
	s_wait_loadcnt 0x0
	s_wait_xcnt 0x1
	v_dual_fma_f64 v[14:15], -v[12:13], v[14:15], v[16:17] :: v_dual_add_nc_u32 v36, 1, v36
	v_dual_add_nc_u32 v35, 1, v35 :: v_dual_add_nc_u32 v34, 1, v34
	s_add_co_i32 s44, s44, -1
	s_delay_alu instid0(SALU_CYCLE_1)
	s_cmp_eq_u32 s44, 0
	global_store_b64 v38, v[14:15], s[12:13] scale_offset
	s_cbranch_scc1 .LBB7_26
.LBB7_36:                               ;   Parent Loop BB7_12 Depth=1
                                        ;     Parent Loop BB7_22 Depth=2
                                        ;       Parent Loop BB7_27 Depth=3
                                        ; =>      This Inner Loop Header: Depth=4
	s_wait_xcnt 0x0
	v_mov_b32_e32 v14, v35
	s_and_not1_b32 vcc_lo, exec_lo, s29
	s_cbranch_vccnz .LBB7_38
; %bb.37:                               ;   in Loop: Header=BB7_36 Depth=4
	v_add_nc_u32_e32 v14, v36, v26
	s_delay_alu instid0(VALU_DEP_1)
	v_mad_u32 v14, v14, s7, v28
.LBB7_38:                               ;   in Loop: Header=BB7_36 Depth=4
	global_load_b64 v[14:15], v14, s[12:13] scale_offset
	v_dual_mov_b32 v17, v34 :: v_dual_add_nc_u32 v16, v36, v23
	s_and_not1_b32 vcc_lo, exec_lo, s29
	s_delay_alu instid0(VALU_DEP_1)
	v_mad_u32 v37, v16, s7, v33
	s_cbranch_vccnz .LBB7_40
; %bb.39:                               ;   in Loop: Header=BB7_36 Depth=4
	v_mad_u32 v17, v16, s7, v33
.LBB7_40:                               ;   in Loop: Header=BB7_36 Depth=4
	global_load_b64 v[16:17], v17, s[12:13] scale_offset
	v_mov_b32_e32 v38, v34
	s_and_not1_b32 vcc_lo, exec_lo, s29
	s_cbranch_vccnz .LBB7_35
; %bb.41:                               ;   in Loop: Header=BB7_36 Depth=4
	v_mov_b32_e32 v38, v37
	s_branch .LBB7_35
.LBB7_42:                               ;   in Loop: Header=BB7_27 Depth=3
                                        ; implicit-def: $vgpr12
	v_add_nc_u32_e32 v13, v33, v23
	s_delay_alu instid0(VALU_DEP_1)
	v_mad_u32 v15, v13, s7, v28
	s_branch .LBB7_29
.LBB7_43:                               ;   in Loop: Header=BB7_27 Depth=3
                                        ; implicit-def: $vgpr14
	s_branch .LBB7_32
.LBB7_44:                               ;   in Loop: Header=BB7_12 Depth=1
	s_or_b32 exec_lo, exec_lo, s39
.LBB7_45:                               ;   in Loop: Header=BB7_12 Depth=1
	v_subrev_nc_u32_e32 v14, s6, v25
	v_add_nc_u32_e32 v15, 1, v24
	s_mov_b32 s4, exec_lo
	s_delay_alu instid0(VALU_DEP_1)
	v_cmpx_lt_i32_e64 v15, v14
	s_cbranch_execz .LBB7_10
; %bb.46:                               ;   in Loop: Header=BB7_12 Depth=1
	v_mul_lo_u32 v16, s23, v15
	s_mov_b32 s39, 0
	s_branch .LBB7_49
.LBB7_47:                               ;   in Loop: Header=BB7_49 Depth=2
	s_or_b32 exec_lo, exec_lo, s40
.LBB7_48:                               ;   in Loop: Header=BB7_49 Depth=2
	v_dual_add_nc_u32 v15, 1, v15 :: v_dual_add_nc_u32 v16, s23, v16
	s_delay_alu instid0(VALU_DEP_1) | instskip(SKIP_1) | instid1(SALU_CYCLE_1)
	v_cmp_ge_i32_e32 vcc_lo, v15, v14
	s_or_b32 s39, vcc_lo, s39
	s_and_not1_b32 exec_lo, exec_lo, s39
	s_cbranch_execz .LBB7_10
.LBB7_49:                               ;   Parent Loop BB7_12 Depth=1
                                        ; =>  This Loop Header: Depth=2
                                        ;       Child Loop BB7_54 Depth 3
                                        ;       Child Loop BB7_61 Depth 3
                                        ;         Child Loop BB7_63 Depth 4
                                        ;           Child Loop BB7_65 Depth 5
	s_wait_dscnt 0x0
	global_load_b32 v10, v15, s[10:11] scale_offset
	v_mov_b32_e32 v11, s25
	s_wait_xcnt 0x0
	s_and_saveexec_b32 s40, s2
	s_cbranch_execz .LBB7_51
; %bb.50:                               ;   in Loop: Header=BB7_49 Depth=2
	global_load_b32 v11, v[8:9], off
	s_wait_loadcnt 0x0
	v_subrev_nc_u32_e32 v11, s6, v11
.LBB7_51:                               ;   in Loop: Header=BB7_49 Depth=2
	s_wait_xcnt 0x0
	s_or_b32 exec_lo, exec_lo, s40
	s_wait_loadcnt 0x0
	v_subrev_nc_u32_e32 v10, s6, v10
	v_mov_b32_e32 v12, v0
	s_mov_b32 s40, exec_lo
	s_delay_alu instid0(VALU_DEP_2)
	v_cmpx_lt_i32_e64 v11, v10
	s_cbranch_execz .LBB7_57
; %bb.52:                               ;   in Loop: Header=BB7_49 Depth=2
	v_mov_b32_e32 v13, v0
	s_mov_b32 s41, 0
	s_branch .LBB7_54
.LBB7_53:                               ;   in Loop: Header=BB7_54 Depth=3
	s_wait_xcnt 0x0
	s_or_b32 exec_lo, exec_lo, s42
	s_delay_alu instid0(VALU_DEP_1) | instskip(SKIP_2) | instid1(SALU_CYCLE_1)
	v_cmp_ge_i32_e32 vcc_lo, v11, v10
	v_mov_b32_e32 v13, v12
	s_or_b32 s41, vcc_lo, s41
	s_and_not1_b32 exec_lo, exec_lo, s41
	s_cbranch_execz .LBB7_56
.LBB7_54:                               ;   Parent Loop BB7_12 Depth=1
                                        ;     Parent Loop BB7_49 Depth=2
                                        ; =>    This Inner Loop Header: Depth=3
	s_delay_alu instid0(VALU_DEP_1) | instskip(SKIP_1) | instid1(VALU_DEP_1)
	v_dual_mov_b32 v11, s25 :: v_dual_add_nc_u32 v12, 64, v13
	s_mov_b32 s42, exec_lo
	v_cmpx_lt_i32_e64 v12, v19
	s_cbranch_execz .LBB7_53
; %bb.55:                               ;   in Loop: Header=BB7_54 Depth=3
	global_load_b32 v11, v13, s[10:11] offset:256 scale_offset
	s_wait_loadcnt 0x0
	v_subrev_nc_u32_e32 v11, s6, v11
	s_branch .LBB7_53
.LBB7_56:                               ;   in Loop: Header=BB7_49 Depth=2
	s_or_b32 exec_lo, exec_lo, s41
.LBB7_57:                               ;   in Loop: Header=BB7_49 Depth=2
	s_delay_alu instid0(SALU_CYCLE_1)
	s_or_b32 exec_lo, exec_lo, s40
	v_cmp_eq_u32_e32 vcc_lo, v11, v10
	s_cbranch_vccz .LBB7_48
; %bb.58:                               ;   in Loop: Header=BB7_49 Depth=2
	s_ctz_i32_b32 s40, vcc_lo
	s_delay_alu instid0(SALU_CYCLE_1) | instskip(NEXT) | instid1(SALU_CYCLE_1)
	s_lshl_b32 s40, s40, 2
	v_mov_b32_e32 v10, s40
	ds_bpermute_b32 v10, v10, v12
	s_and_saveexec_b32 s40, s0
	s_cbranch_execz .LBB7_47
; %bb.59:                               ;   in Loop: Header=BB7_49 Depth=2
	v_mul_lo_u32 v17, v15, s7
	s_wait_dscnt 0x0
	v_mul_lo_u32 v24, v10, s7
	v_dual_mov_b32 v25, v22 :: v_dual_mov_b32 v26, v18
	s_mov_b32 s41, 0
	s_branch .LBB7_61
.LBB7_60:                               ;   in Loop: Header=BB7_61 Depth=3
	v_dual_add_nc_u32 v26, 64, v26 :: v_dual_add_nc_u32 v25, s31, v25
	s_delay_alu instid0(VALU_DEP_1)
	v_cmp_le_i32_e32 vcc_lo, s7, v26
	s_or_b32 s41, vcc_lo, s41
	s_wait_xcnt 0x0
	s_and_not1_b32 exec_lo, exec_lo, s41
	s_cbranch_execz .LBB7_47
.LBB7_61:                               ;   Parent Loop BB7_12 Depth=1
                                        ;     Parent Loop BB7_49 Depth=2
                                        ; =>    This Loop Header: Depth=3
                                        ;         Child Loop BB7_63 Depth 4
                                        ;           Child Loop BB7_65 Depth 5
	s_delay_alu instid0(VALU_DEP_1) | instskip(SKIP_1) | instid1(VALU_DEP_1)
	v_dual_add_nc_u32 v10, v26, v24 :: v_dual_mov_b32 v28, v16
	s_mov_b32 s42, 0
	v_mul_lo_u32 v27, v10, s7
	s_branch .LBB7_63
.LBB7_62:                               ;   in Loop: Header=BB7_63 Depth=4
	global_load_b64 v[30:31], v12, s[12:13] scale_offset
	s_add_co_i32 s42, s42, 1
	v_add_nc_u32_e32 v28, 1, v28
	s_cmp_eq_u32 s42, s7
	s_wait_loadcnt 0x0
	v_add_f64_e64 v[10:11], v[30:31], -v[10:11]
	global_store_b64 v12, v[10:11], s[12:13] scale_offset
	s_cbranch_scc1 .LBB7_60
.LBB7_63:                               ;   Parent Loop BB7_12 Depth=1
                                        ;     Parent Loop BB7_49 Depth=2
                                        ;       Parent Loop BB7_61 Depth=3
                                        ; =>      This Loop Header: Depth=4
                                        ;           Child Loop BB7_65 Depth 5
	s_wait_xcnt 0x0
	v_dual_add_nc_u32 v10, s42, v17 :: v_dual_mov_b32 v30, v28
	s_mov_b32 s43, 0
	s_delay_alu instid0(VALU_DEP_1)
	v_mul_lo_u32 v29, v10, s7
	v_mov_b64_e32 v[10:11], 0
	s_branch .LBB7_65
.LBB7_64:                               ;   in Loop: Header=BB7_65 Depth=5
	global_load_b64 v[32:33], v31, s[12:13] scale_offset
	v_add_nc_u32_e32 v30, s7, v30
	s_add_co_i32 s43, s43, 1
	s_delay_alu instid0(SALU_CYCLE_1)
	s_cmp_eq_u32 s7, s43
	s_wait_loadcnt 0x0
	v_fmac_f64_e32 v[10:11], v[12:13], v[32:33]
	s_cbranch_scc1 .LBB7_71
.LBB7_65:                               ;   Parent Loop BB7_12 Depth=1
                                        ;     Parent Loop BB7_49 Depth=2
                                        ;       Parent Loop BB7_61 Depth=3
                                        ;         Parent Loop BB7_63 Depth=4
                                        ; =>        This Inner Loop Header: Depth=5
	s_and_b32 vcc_lo, exec_lo, s29
	s_cbranch_vccz .LBB7_70
; %bb.66:                               ;   in Loop: Header=BB7_65 Depth=5
	s_wait_xcnt 0x1
	v_add_nc_u32_e32 v12, s43, v23
	s_delay_alu instid0(VALU_DEP_1)
	v_mad_u32 v12, v12, s7, v26
	s_cbranch_execnz .LBB7_68
.LBB7_67:                               ;   in Loop: Header=BB7_65 Depth=5
	s_wait_xcnt 0x1
	v_add_nc_u32_e32 v12, s43, v25
.LBB7_68:                               ;   in Loop: Header=BB7_65 Depth=5
	global_load_b64 v[12:13], v12, s[12:13] scale_offset
	s_wait_xcnt 0x1
	v_mov_b32_e32 v31, v30
	s_and_not1_b32 vcc_lo, exec_lo, s29
	s_cbranch_vccnz .LBB7_64
; %bb.69:                               ;   in Loop: Header=BB7_65 Depth=5
	v_add_nc_u32_e32 v31, s43, v29
	s_branch .LBB7_64
.LBB7_70:                               ;   in Loop: Header=BB7_65 Depth=5
                                        ; implicit-def: $vgpr12
	s_branch .LBB7_67
.LBB7_71:                               ;   in Loop: Header=BB7_63 Depth=4
	s_and_b32 vcc_lo, exec_lo, s29
	s_cbranch_vccz .LBB7_73
; %bb.72:                               ;   in Loop: Header=BB7_63 Depth=4
	s_wait_xcnt 0x1
	v_add_nc_u32_e32 v12, s42, v24
	s_delay_alu instid0(VALU_DEP_1)
	v_mad_u32 v12, v12, s7, v26
	s_cbranch_execnz .LBB7_62
	s_branch .LBB7_74
.LBB7_73:                               ;   in Loop: Header=BB7_63 Depth=4
                                        ; implicit-def: $vgpr12
.LBB7_74:                               ;   in Loop: Header=BB7_63 Depth=4
	s_wait_xcnt 0x1
	v_add_nc_u32_e32 v12, s42, v27
	s_branch .LBB7_62
.LBB7_75:
	s_or_b32 exec_lo, exec_lo, s35
	s_delay_alu instid0(SALU_CYCLE_1)
	s_and_b32 s2, s36, exec_lo
.LBB7_76:
	s_or_b32 exec_lo, exec_lo, s22
	global_load_b32 v0, v20, s[10:11] scale_offset
	s_wait_kmcnt 0x0
	s_cmp_gt_i32 s7, 0
	s_mov_b32 s8, 0
	s_cselect_b32 s3, -1, 0
	s_wait_loadcnt 0x0
	v_subrev_nc_u32_e32 v0, s6, v0
	s_delay_alu instid0(VALU_DEP_1)
	v_cmp_eq_u32_e32 vcc_lo, v0, v2
	s_and_b32 s0, s3, vcc_lo
	s_wait_xcnt 0x0
	s_and_saveexec_b32 s4, s0
	s_cbranch_execz .LBB7_110
; %bb.77:
	v_cvt_f64_f32_e32 v[0:1], s27
	v_mul_lo_u32 v14, v20, s7
	s_cmp_eq_u64 s[16:17], 8
	s_mul_i32 s0, s7, s7
	s_cselect_b32 vcc_lo, -1, 0
	s_cmp_lg_u32 s24, 0
	v_mad_u32 v15, v20, s0, 1
	s_cselect_b32 s9, -1, 0
	s_add_co_i32 s10, s7, 1
	v_cmp_eq_u32_e64 s0, 0, v18
	s_lshl_b32 s11, s7, 6
	v_dual_mov_b32 v17, 0 :: v_dual_add_nc_u32 v8, v14, v18
	s_add_co_i32 s14, s7, -1
	s_mov_b32 s16, s2
                                        ; implicit-def: $sgpr15
	s_delay_alu instid0(VALU_DEP_1)
	v_mad_u32 v16, s7, v8, s10
	s_wait_dscnt 0x0
	v_dual_cndmask_b32 v1, v1, v7 :: v_dual_cndmask_b32 v0, v0, v6
	s_branch .LBB7_79
.LBB7_78:                               ;   in Loop: Header=BB7_79 Depth=1
	s_or_b32 exec_lo, exec_lo, s1
	s_delay_alu instid0(VALU_DEP_1)
	v_cmp_eq_u32_e32 vcc_lo, s7, v22
	s_add_co_i32 s14, s14, -1
	v_dual_add_nc_u32 v15, s10, v15 :: v_dual_add_nc_u32 v16, s10, v16
	v_mov_b32_e32 v17, v22
	s_or_b32 s8, vcc_lo, s8
	s_and_not1_b32 s1, s15, exec_lo
	s_and_b32 s15, s16, exec_lo
	s_delay_alu instid0(SALU_CYCLE_1)
	s_or_b32 s15, s1, s15
	s_and_not1_b32 exec_lo, exec_lo, s8
	s_cbranch_execz .LBB7_109
.LBB7_79:                               ; =>This Loop Header: Depth=1
                                        ;     Child Loop BB7_89 Depth 2
                                        ;       Child Loop BB7_98 Depth 3
	v_add_nc_u32_e32 v6, v17, v14
	s_mov_b32 s17, 0
	s_and_not1_b32 vcc_lo, exec_lo, s26
	s_mov_b32 s1, 0
	s_mov_b32 s22, -1
	v_mul_lo_u32 v21, v6, s7
                                        ; implicit-def: $vgpr8_vgpr9
	s_delay_alu instid0(VALU_DEP_1)
	v_add_nc_u32_e32 v10, v21, v17
	global_load_b64 v[6:7], v10, s[12:13] scale_offset
	s_cbranch_vccnz .LBB7_83
; %bb.80:                               ;   in Loop: Header=BB7_79 Depth=1
	s_wait_loadcnt 0x0
	v_cmp_ge_f64_e64 vcc_lo, v[0:1], |v[6:7]|
	v_dual_cndmask_b32 v9, v7, v5 :: v_dual_cndmask_b32 v8, v6, v4
	s_wait_xcnt 0x0
	s_and_saveexec_b32 s1, s0
	s_cbranch_execz .LBB7_82
; %bb.81:                               ;   in Loop: Header=BB7_79 Depth=1
	v_ashrrev_i32_e32 v11, 31, v10
	s_delay_alu instid0(VALU_DEP_1)
	v_lshl_add_u64 v[10:11], v[10:11], 3, s[12:13]
	global_store_b64 v[10:11], v[8:9], off
.LBB7_82:                               ;   in Loop: Header=BB7_79 Depth=1
	s_wait_xcnt 0x0
	s_or_b32 exec_lo, exec_lo, s1
	s_mov_b32 s22, 0
	s_mov_b32 s1, -1
.LBB7_83:                               ;   in Loop: Header=BB7_79 Depth=1
	s_and_not1_b32 vcc_lo, exec_lo, s22
	s_cbranch_vccnz .LBB7_85
; %bb.84:                               ;   in Loop: Header=BB7_79 Depth=1
	s_wait_loadcnt 0x0
	v_cmp_neq_f64_e32 vcc_lo, 0, v[6:7]
	s_and_not1_b32 s1, s1, exec_lo
	s_mov_b32 s17, -1
	s_and_b32 s22, vcc_lo, exec_lo
	s_delay_alu instid0(SALU_CYCLE_1) | instskip(SKIP_2) | instid1(SALU_CYCLE_1)
	s_or_b32 s1, s1, s22
                                        ; implicit-def: $vgpr22
	s_wait_xcnt 0x0
	s_and_saveexec_b32 s22, s1
	s_xor_b32 s22, exec_lo, s22
	s_cbranch_execnz .LBB7_86
	s_branch .LBB7_107
.LBB7_85:                               ;   in Loop: Header=BB7_79 Depth=1
	s_wait_loadcnt 0x0
	v_mov_b64_e32 v[6:7], v[8:9]
                                        ; implicit-def: $vgpr22
	s_wait_xcnt 0x0
	s_and_saveexec_b32 s22, s1
	s_delay_alu instid0(SALU_CYCLE_1)
	s_xor_b32 s22, exec_lo, s22
	s_cbranch_execz .LBB7_107
.LBB7_86:                               ;   in Loop: Header=BB7_79 Depth=1
	v_add_nc_u32_e32 v22, 1, v17
	s_mov_b32 s23, exec_lo
	s_delay_alu instid0(VALU_DEP_1) | instskip(NEXT) | instid1(VALU_DEP_1)
	v_add_nc_u32_e32 v23, v22, v18
	v_cmpx_gt_i32_e64 s7, v23
	s_cbranch_execz .LBB7_106
; %bb.87:                               ;   in Loop: Header=BB7_79 Depth=1
	v_cmp_gt_i32_e64 s1, s7, v22
	v_mov_b32_e32 v24, v16
	s_mov_b32 s25, 0
	s_branch .LBB7_89
.LBB7_88:                               ;   in Loop: Header=BB7_89 Depth=2
	s_wait_xcnt 0x0
	s_or_b32 exec_lo, exec_lo, s27
	v_dual_add_nc_u32 v23, 64, v23 :: v_dual_add_nc_u32 v24, s11, v24
	s_delay_alu instid0(VALU_DEP_1) | instskip(SKIP_1) | instid1(SALU_CYCLE_1)
	v_cmp_le_i32_e32 vcc_lo, s7, v23
	s_or_b32 s25, vcc_lo, s25
	s_and_not1_b32 exec_lo, exec_lo, s25
	s_cbranch_execz .LBB7_106
.LBB7_89:                               ;   Parent Loop BB7_79 Depth=1
                                        ; =>  This Loop Header: Depth=2
                                        ;       Child Loop BB7_98 Depth 3
	v_add_nc_u32_e32 v10, v23, v21
	s_and_b32 vcc_lo, exec_lo, s9
	s_cbranch_vccz .LBB7_104
; %bb.90:                               ;   in Loop: Header=BB7_89 Depth=2
	v_add_nc_u32_e32 v8, v23, v21
	s_cbranch_execnz .LBB7_92
.LBB7_91:                               ;   in Loop: Header=BB7_89 Depth=2
	v_add_nc_u32_e32 v8, v23, v14
	s_delay_alu instid0(VALU_DEP_1)
	v_mad_u32 v8, v8, s7, v17
.LBB7_92:                               ;   in Loop: Header=BB7_89 Depth=2
	global_load_b64 v[8:9], v8, s[12:13] scale_offset
	s_and_b32 vcc_lo, exec_lo, s9
	s_cbranch_vccz .LBB7_105
; %bb.93:                               ;   in Loop: Header=BB7_89 Depth=2
	s_cbranch_execnz .LBB7_95
.LBB7_94:                               ;   in Loop: Header=BB7_89 Depth=2
	v_add_nc_u32_e32 v10, v23, v14
	s_delay_alu instid0(VALU_DEP_1)
	v_mad_u32 v10, v10, s7, v17
.LBB7_95:                               ;   in Loop: Header=BB7_89 Depth=2
	s_wait_loadcnt 0x0
	v_div_scale_f64 v[12:13], null, v[6:7], v[6:7], v[8:9]
	s_delay_alu instid0(VALU_DEP_1) | instskip(SKIP_1) | instid1(TRANS32_DEP_1)
	v_rcp_f64_e32 v[26:27], v[12:13]
	v_nop
	v_fma_f64 v[28:29], -v[12:13], v[26:27], 1.0
	s_delay_alu instid0(VALU_DEP_1) | instskip(NEXT) | instid1(VALU_DEP_1)
	v_fmac_f64_e32 v[26:27], v[26:27], v[28:29]
	v_fma_f64 v[28:29], -v[12:13], v[26:27], 1.0
	s_delay_alu instid0(VALU_DEP_1) | instskip(SKIP_1) | instid1(VALU_DEP_1)
	v_fmac_f64_e32 v[26:27], v[26:27], v[28:29]
	v_div_scale_f64 v[28:29], vcc_lo, v[8:9], v[6:7], v[8:9]
	v_mul_f64_e32 v[30:31], v[28:29], v[26:27]
	s_delay_alu instid0(VALU_DEP_1) | instskip(NEXT) | instid1(VALU_DEP_1)
	v_fma_f64 v[12:13], -v[12:13], v[30:31], v[28:29]
	v_div_fmas_f64 v[12:13], v[12:13], v[26:27], v[30:31]
	s_wait_xcnt 0x0
	s_delay_alu instid0(VALU_DEP_1)
	v_div_fixup_f64 v[8:9], v[12:13], v[6:7], v[8:9]
	global_store_b64 v10, v[8:9], s[12:13] scale_offset
	s_wait_xcnt 0x0
	s_and_saveexec_b32 s27, s1
	s_cbranch_execz .LBB7_88
; %bb.96:                               ;   in Loop: Header=BB7_89 Depth=2
	v_dual_mov_b32 v25, v24 :: v_dual_mov_b32 v26, v15
	v_mov_b32_e32 v27, v22
	s_mov_b32 s28, s14
	s_branch .LBB7_98
.LBB7_97:                               ;   in Loop: Header=BB7_98 Depth=3
	s_wait_loadcnt 0x0
	s_wait_xcnt 0x1
	v_dual_fma_f64 v[10:11], -v[8:9], v[10:11], v[12:13] :: v_dual_add_nc_u32 v25, 1, v25
	v_dual_add_nc_u32 v27, 1, v27 :: v_dual_add_nc_u32 v26, 1, v26
	s_add_co_i32 s28, s28, -1
	s_delay_alu instid0(SALU_CYCLE_1)
	s_cmp_eq_u32 s28, 0
	global_store_b64 v29, v[10:11], s[12:13] scale_offset
	s_cbranch_scc1 .LBB7_88
.LBB7_98:                               ;   Parent Loop BB7_79 Depth=1
                                        ;     Parent Loop BB7_89 Depth=2
                                        ; =>    This Inner Loop Header: Depth=3
	s_wait_xcnt 0x0
	s_delay_alu instid0(VALU_DEP_1)
	v_dual_add_nc_u32 v12, v27, v14 :: v_dual_mov_b32 v10, v26
	s_and_not1_b32 vcc_lo, exec_lo, s9
	s_cbranch_vccnz .LBB7_100
; %bb.99:                               ;   in Loop: Header=BB7_98 Depth=3
	s_delay_alu instid0(VALU_DEP_1)
	v_mad_u32 v10, v12, s7, v17
.LBB7_100:                              ;   in Loop: Header=BB7_98 Depth=3
	global_load_b64 v[10:11], v10, s[12:13] scale_offset
	v_mad_u32 v28, v12, s7, v23
	v_mov_b32_e32 v13, v25
	s_and_not1_b32 vcc_lo, exec_lo, s9
	s_cbranch_vccnz .LBB7_102
; %bb.101:                              ;   in Loop: Header=BB7_98 Depth=3
	v_mad_u32 v13, v12, s7, v23
.LBB7_102:                              ;   in Loop: Header=BB7_98 Depth=3
	global_load_b64 v[12:13], v13, s[12:13] scale_offset
	v_mov_b32_e32 v29, v25
	s_and_not1_b32 vcc_lo, exec_lo, s9
	s_cbranch_vccnz .LBB7_97
; %bb.103:                              ;   in Loop: Header=BB7_98 Depth=3
	v_mov_b32_e32 v29, v28
	s_branch .LBB7_97
.LBB7_104:                              ;   in Loop: Header=BB7_89 Depth=2
                                        ; implicit-def: $vgpr8
	s_branch .LBB7_91
.LBB7_105:                              ;   in Loop: Header=BB7_89 Depth=2
                                        ; implicit-def: $vgpr10
	s_branch .LBB7_94
.LBB7_106:                              ;   in Loop: Header=BB7_79 Depth=1
	s_or_b32 exec_lo, exec_lo, s23
	s_delay_alu instid0(SALU_CYCLE_1)
	s_and_not1_b32 s17, s17, exec_lo
.LBB7_107:                              ;   in Loop: Header=BB7_79 Depth=1
	s_or_b32 exec_lo, exec_lo, s22
	s_delay_alu instid0(SALU_CYCLE_1) | instskip(SKIP_1) | instid1(SALU_CYCLE_1)
	s_and_not1_b32 s1, s16, exec_lo
	s_and_b32 s16, s16, exec_lo
	s_or_b32 s16, s1, s16
	s_and_saveexec_b32 s1, s17
	s_cbranch_execz .LBB7_78
; %bb.108:                              ;   in Loop: Header=BB7_79 Depth=1
	v_add_nc_u32_e32 v22, 1, v17
	s_or_b32 s16, s16, exec_lo
	s_branch .LBB7_78
.LBB7_109:
	s_or_b32 exec_lo, exec_lo, s8
	s_delay_alu instid0(SALU_CYCLE_1) | instskip(SKIP_1) | instid1(SALU_CYCLE_1)
	s_and_not1_b32 s0, s2, exec_lo
	s_and_b32 s1, s15, exec_lo
	s_or_b32 s2, s0, s1
.LBB7_110:
	s_or_b32 exec_lo, exec_lo, s4
	v_add_nc_u32_e32 v8, 1, v20
	s_mov_b32 s1, exec_lo
	s_delay_alu instid0(VALU_DEP_1)
	v_cmpx_lt_i32_e64 v8, v19
	s_cbranch_execz .LBB7_134
; %bb.111:
	v_mul_lo_u32 v9, v20, s7
	s_mul_i32 s4, s7, s7
	v_cmp_gt_i32_e64 s0, s7, v18
	v_mul_lo_u32 v0, s4, v8
	s_cmp_lg_u32 s24, 0
	s_mov_b32 s8, 0
	s_cselect_b32 s9, -1, 0
	s_add_co_i32 s10, s7, 1
	s_add_co_i32 s11, s7, -1
	s_wait_dscnt 0x0
	v_mad_u32 v10, s7, v9, s7
	s_delay_alu instid0(VALU_DEP_2)
	v_add3_u32 v11, v0, s7, v18
	s_branch .LBB7_113
.LBB7_112:                              ;   in Loop: Header=BB7_113 Depth=1
	s_delay_alu instid0(VALU_DEP_1) | instskip(NEXT) | instid1(VALU_DEP_1)
	v_dual_add_nc_u32 v8, 1, v8 :: v_dual_add_nc_u32 v11, s4, v11
	v_cmp_ge_i32_e32 vcc_lo, v8, v19
	s_or_b32 s8, vcc_lo, s8
	s_delay_alu instid0(SALU_CYCLE_1)
	s_and_not1_b32 exec_lo, exec_lo, s8
	s_cbranch_execz .LBB7_134
.LBB7_113:                              ; =>This Loop Header: Depth=1
                                        ;     Child Loop BB7_116 Depth 2
                                        ;       Child Loop BB7_119 Depth 3
                                        ;         Child Loop BB7_122 Depth 4
	s_and_not1_b32 vcc_lo, exec_lo, s3
	s_cbranch_vccnz .LBB7_112
; %bb.114:                              ;   in Loop: Header=BB7_113 Depth=1
	v_mul_lo_u32 v12, v8, s7
	s_delay_alu instid0(VALU_DEP_3)
	v_dual_mov_b32 v13, v11 :: v_dual_mov_b32 v14, v10
	s_mov_b32 s15, 0
	s_mov_b32 s14, s11
	s_branch .LBB7_116
.LBB7_115:                              ;   in Loop: Header=BB7_116 Depth=2
	s_or_b32 exec_lo, exec_lo, s17
	v_dual_add_nc_u32 v14, s10, v14 :: v_dual_add_nc_u32 v13, s7, v13
	s_add_co_i32 s14, s14, -1
	s_cmp_eq_u32 s16, s7
	s_mov_b32 s15, s16
	s_cbranch_scc1 .LBB7_112
.LBB7_116:                              ;   Parent Loop BB7_113 Depth=1
                                        ; =>  This Loop Header: Depth=2
                                        ;       Child Loop BB7_119 Depth 3
                                        ;         Child Loop BB7_122 Depth 4
	s_add_co_i32 s16, s15, 1
	s_and_saveexec_b32 s17, s0
	s_cbranch_execz .LBB7_115
; %bb.117:                              ;   in Loop: Header=BB7_116 Depth=2
	s_delay_alu instid0(VALU_DEP_2) | instskip(SKIP_2) | instid1(VALU_DEP_2)
	v_dual_add_nc_u32 v0, s15, v9 :: v_dual_add_nc_u32 v1, s15, v12
	v_dual_mov_b32 v17, v13 :: v_dual_mov_b32 v20, v18
	s_cmp_lt_i32 s16, s7
	v_mul_lo_u32 v15, v0, s7
	s_delay_alu instid0(VALU_DEP_3)
	v_mul_lo_u32 v16, v1, s7
	s_cselect_b32 s22, -1, 0
	s_mov_b32 s23, 0
	s_branch .LBB7_119
.LBB7_118:                              ;   in Loop: Header=BB7_119 Depth=3
	v_dual_add_nc_u32 v20, 64, v20 :: v_dual_add_nc_u32 v17, 64, v17
	s_delay_alu instid0(VALU_DEP_1)
	v_cmp_le_i32_e32 vcc_lo, s7, v20
	s_or_b32 s23, vcc_lo, s23
	s_wait_xcnt 0x0
	s_and_not1_b32 exec_lo, exec_lo, s23
	s_cbranch_execz .LBB7_115
.LBB7_119:                              ;   Parent Loop BB7_113 Depth=1
                                        ;     Parent Loop BB7_116 Depth=2
                                        ; =>    This Loop Header: Depth=3
                                        ;         Child Loop BB7_122 Depth 4
	s_and_not1_b32 vcc_lo, exec_lo, s22
	s_cbranch_vccnz .LBB7_118
; %bb.120:                              ;   in Loop: Header=BB7_119 Depth=3
	v_add_nc_u32_e32 v0, v20, v12
	s_delay_alu instid0(VALU_DEP_2) | instskip(SKIP_4) | instid1(VALU_DEP_1)
	v_add_nc_u32_e32 v23, v20, v16
	s_mov_b32 s24, 0
	s_mov_b32 s25, s14
	;; [unrolled: 1-line block ×3, first 2 shown]
	v_mul_lo_u32 v21, v0, s7
	v_add_nc_u32_e32 v22, s15, v21
	s_branch .LBB7_122
.LBB7_121:                              ;   in Loop: Header=BB7_122 Depth=4
	s_wait_loadcnt 0x0
	v_fma_f64 v[0:1], -v[0:1], v[4:5], v[6:7]
	s_add_co_i32 s25, s25, -1
	s_add_co_i32 s26, s26, 1
	s_add_co_i32 s24, s24, s7
	s_cmp_eq_u32 s25, 0
	global_store_b64 v24, v[0:1], s[12:13] scale_offset
	s_cbranch_scc1 .LBB7_118
.LBB7_122:                              ;   Parent Loop BB7_113 Depth=1
                                        ;     Parent Loop BB7_116 Depth=2
                                        ;       Parent Loop BB7_119 Depth=3
                                        ; =>      This Inner Loop Header: Depth=4
	s_and_b32 vcc_lo, exec_lo, s9
	s_cbranch_vccz .LBB7_130
; %bb.123:                              ;   in Loop: Header=BB7_122 Depth=4
	s_wait_xcnt 0x1
	v_add_nc_u32_e32 v6, s26, v15
	v_mov_b32_e32 v7, v22
	s_cbranch_execnz .LBB7_125
.LBB7_124:                              ;   in Loop: Header=BB7_122 Depth=4
	s_wait_xcnt 0x1
	v_dual_mov_b32 v7, v23 :: v_dual_add_nc_u32 v6, s24, v14
.LBB7_125:                              ;   in Loop: Header=BB7_122 Depth=4
	s_clause 0x1
	global_load_b64 v[0:1], v6, s[12:13] scale_offset
	global_load_b64 v[4:5], v7, s[12:13] scale_offset
	v_add_nc_u32_e32 v24, s26, v21
	s_and_b32 vcc_lo, exec_lo, s9
	s_cbranch_vccz .LBB7_131
; %bb.126:                              ;   in Loop: Header=BB7_122 Depth=4
	s_wait_xcnt 0x1
	v_add_nc_u32_e32 v6, s26, v21
	v_add_nc_u32_e32 v25, s24, v17
	s_cbranch_execnz .LBB7_128
.LBB7_127:                              ;   in Loop: Header=BB7_122 Depth=4
	s_wait_xcnt 0x1
	v_add_nc_u32_e32 v6, s24, v17
.LBB7_128:                              ;   in Loop: Header=BB7_122 Depth=4
	global_load_b64 v[6:7], v6, s[12:13] scale_offset
	s_and_b32 vcc_lo, exec_lo, s9
	s_cbranch_vccz .LBB7_132
; %bb.129:                              ;   in Loop: Header=BB7_122 Depth=4
	s_cbranch_execnz .LBB7_121
	s_branch .LBB7_133
.LBB7_130:                              ;   in Loop: Header=BB7_122 Depth=4
                                        ; implicit-def: $vgpr6
	s_delay_alu instid0(VALU_DEP_1)
	v_mov_b32_e32 v7, v22
	s_branch .LBB7_124
.LBB7_131:                              ;   in Loop: Header=BB7_122 Depth=4
                                        ; implicit-def: $vgpr6
	v_add_nc_u32_e32 v25, s24, v17
	s_branch .LBB7_127
.LBB7_132:                              ;   in Loop: Header=BB7_122 Depth=4
                                        ; implicit-def: $vgpr24
.LBB7_133:                              ;   in Loop: Header=BB7_122 Depth=4
	v_mov_b32_e32 v24, v25
	s_branch .LBB7_121
.LBB7_134:
	s_or_b32 exec_lo, exec_lo, s1
	s_delay_alu instid0(SALU_CYCLE_1)
	s_or_not1_b32 s2, s2, exec_lo
.LBB7_135:
	s_or_b32 exec_lo, exec_lo, s5
	v_cmp_eq_u32_e32 vcc_lo, 0, v18
	s_and_b32 exec_lo, exec_lo, vcc_lo
	s_cbranch_execz .LBB7_141
; %bb.136:
	v_lshl_add_u64 v[0:1], v[2:3], 2, s[20:21]
	v_mov_b32_e32 v3, 1
	global_wb scope:SCOPE_DEV
	s_wait_storecnt_dscnt 0x0
	global_store_b32 v[0:1], v3, off scope:SCOPE_DEV
	s_wait_xcnt 0x0
	s_and_b32 exec_lo, exec_lo, s2
	s_cbranch_execz .LBB7_141
; %bb.137:
	v_add_nc_u32_e32 v0, s6, v2
	s_mov_b32 s1, exec_lo
	s_brev_b32 s0, -2
.LBB7_138:                              ; =>This Inner Loop Header: Depth=1
	s_ctz_i32_b32 s2, s1
	s_delay_alu instid0(VALU_DEP_1) | instid1(SALU_CYCLE_1)
	v_readlane_b32 s3, v0, s2
	s_lshl_b32 s2, 1, s2
	s_delay_alu instid0(SALU_CYCLE_1)
	s_and_not1_b32 s1, s1, s2
	s_min_i32 s0, s0, s3
	s_cmp_lg_u32 s1, 0
	s_cbranch_scc1 .LBB7_138
; %bb.139:
	v_mbcnt_lo_u32_b32 v0, exec_lo, 0
	s_mov_b32 s1, exec_lo
	s_delay_alu instid0(VALU_DEP_1)
	v_cmpx_eq_u32_e32 0, v0
	s_xor_b32 s1, exec_lo, s1
	s_cbranch_execz .LBB7_141
; %bb.140:
	v_dual_mov_b32 v0, 0 :: v_dual_mov_b32 v1, s0
	global_atomic_min_i32 v0, v1, s[18:19] scope:SCOPE_DEV
.LBB7_141:
	s_endpgm
	.section	.rodata,"a",@progbits
	.p2align	6, 0x0
	.amdhsa_kernel _ZN9rocsparseL15bsrilu0_generalILj128ELj64ELb1EdEEv20rocsparse_direction_iPKiS3_PT2_S3_iPiS3_S6_21rocsparse_index_base_imNS_24const_host_device_scalarIfEENS8_IdEENS8_IS4_EEb
		.amdhsa_group_segment_fixed_size 0
		.amdhsa_private_segment_fixed_size 0
		.amdhsa_kernarg_size 116
		.amdhsa_user_sgpr_count 2
		.amdhsa_user_sgpr_dispatch_ptr 0
		.amdhsa_user_sgpr_queue_ptr 0
		.amdhsa_user_sgpr_kernarg_segment_ptr 1
		.amdhsa_user_sgpr_dispatch_id 0
		.amdhsa_user_sgpr_kernarg_preload_length 0
		.amdhsa_user_sgpr_kernarg_preload_offset 0
		.amdhsa_user_sgpr_private_segment_size 0
		.amdhsa_wavefront_size32 1
		.amdhsa_uses_dynamic_stack 0
		.amdhsa_enable_private_segment 0
		.amdhsa_system_sgpr_workgroup_id_x 1
		.amdhsa_system_sgpr_workgroup_id_y 0
		.amdhsa_system_sgpr_workgroup_id_z 0
		.amdhsa_system_sgpr_workgroup_info 0
		.amdhsa_system_vgpr_workitem_id 0
		.amdhsa_next_free_vgpr 40
		.amdhsa_next_free_sgpr 45
		.amdhsa_named_barrier_count 0
		.amdhsa_reserve_vcc 1
		.amdhsa_float_round_mode_32 0
		.amdhsa_float_round_mode_16_64 0
		.amdhsa_float_denorm_mode_32 3
		.amdhsa_float_denorm_mode_16_64 3
		.amdhsa_fp16_overflow 0
		.amdhsa_memory_ordered 1
		.amdhsa_forward_progress 1
		.amdhsa_inst_pref_size 32
		.amdhsa_round_robin_scheduling 0
		.amdhsa_exception_fp_ieee_invalid_op 0
		.amdhsa_exception_fp_denorm_src 0
		.amdhsa_exception_fp_ieee_div_zero 0
		.amdhsa_exception_fp_ieee_overflow 0
		.amdhsa_exception_fp_ieee_underflow 0
		.amdhsa_exception_fp_ieee_inexact 0
		.amdhsa_exception_int_div_zero 0
	.end_amdhsa_kernel
	.section	.text._ZN9rocsparseL15bsrilu0_generalILj128ELj64ELb1EdEEv20rocsparse_direction_iPKiS3_PT2_S3_iPiS3_S6_21rocsparse_index_base_imNS_24const_host_device_scalarIfEENS8_IdEENS8_IS4_EEb,"axG",@progbits,_ZN9rocsparseL15bsrilu0_generalILj128ELj64ELb1EdEEv20rocsparse_direction_iPKiS3_PT2_S3_iPiS3_S6_21rocsparse_index_base_imNS_24const_host_device_scalarIfEENS8_IdEENS8_IS4_EEb,comdat
.Lfunc_end7:
	.size	_ZN9rocsparseL15bsrilu0_generalILj128ELj64ELb1EdEEv20rocsparse_direction_iPKiS3_PT2_S3_iPiS3_S6_21rocsparse_index_base_imNS_24const_host_device_scalarIfEENS8_IdEENS8_IS4_EEb, .Lfunc_end7-_ZN9rocsparseL15bsrilu0_generalILj128ELj64ELb1EdEEv20rocsparse_direction_iPKiS3_PT2_S3_iPiS3_S6_21rocsparse_index_base_imNS_24const_host_device_scalarIfEENS8_IdEENS8_IS4_EEb
                                        ; -- End function
	.set _ZN9rocsparseL15bsrilu0_generalILj128ELj64ELb1EdEEv20rocsparse_direction_iPKiS3_PT2_S3_iPiS3_S6_21rocsparse_index_base_imNS_24const_host_device_scalarIfEENS8_IdEENS8_IS4_EEb.num_vgpr, 40
	.set _ZN9rocsparseL15bsrilu0_generalILj128ELj64ELb1EdEEv20rocsparse_direction_iPKiS3_PT2_S3_iPiS3_S6_21rocsparse_index_base_imNS_24const_host_device_scalarIfEENS8_IdEENS8_IS4_EEb.num_agpr, 0
	.set _ZN9rocsparseL15bsrilu0_generalILj128ELj64ELb1EdEEv20rocsparse_direction_iPKiS3_PT2_S3_iPiS3_S6_21rocsparse_index_base_imNS_24const_host_device_scalarIfEENS8_IdEENS8_IS4_EEb.numbered_sgpr, 45
	.set _ZN9rocsparseL15bsrilu0_generalILj128ELj64ELb1EdEEv20rocsparse_direction_iPKiS3_PT2_S3_iPiS3_S6_21rocsparse_index_base_imNS_24const_host_device_scalarIfEENS8_IdEENS8_IS4_EEb.num_named_barrier, 0
	.set _ZN9rocsparseL15bsrilu0_generalILj128ELj64ELb1EdEEv20rocsparse_direction_iPKiS3_PT2_S3_iPiS3_S6_21rocsparse_index_base_imNS_24const_host_device_scalarIfEENS8_IdEENS8_IS4_EEb.private_seg_size, 0
	.set _ZN9rocsparseL15bsrilu0_generalILj128ELj64ELb1EdEEv20rocsparse_direction_iPKiS3_PT2_S3_iPiS3_S6_21rocsparse_index_base_imNS_24const_host_device_scalarIfEENS8_IdEENS8_IS4_EEb.uses_vcc, 1
	.set _ZN9rocsparseL15bsrilu0_generalILj128ELj64ELb1EdEEv20rocsparse_direction_iPKiS3_PT2_S3_iPiS3_S6_21rocsparse_index_base_imNS_24const_host_device_scalarIfEENS8_IdEENS8_IS4_EEb.uses_flat_scratch, 0
	.set _ZN9rocsparseL15bsrilu0_generalILj128ELj64ELb1EdEEv20rocsparse_direction_iPKiS3_PT2_S3_iPiS3_S6_21rocsparse_index_base_imNS_24const_host_device_scalarIfEENS8_IdEENS8_IS4_EEb.has_dyn_sized_stack, 0
	.set _ZN9rocsparseL15bsrilu0_generalILj128ELj64ELb1EdEEv20rocsparse_direction_iPKiS3_PT2_S3_iPiS3_S6_21rocsparse_index_base_imNS_24const_host_device_scalarIfEENS8_IdEENS8_IS4_EEb.has_recursion, 0
	.set _ZN9rocsparseL15bsrilu0_generalILj128ELj64ELb1EdEEv20rocsparse_direction_iPKiS3_PT2_S3_iPiS3_S6_21rocsparse_index_base_imNS_24const_host_device_scalarIfEENS8_IdEENS8_IS4_EEb.has_indirect_call, 0
	.section	.AMDGPU.csdata,"",@progbits
; Kernel info:
; codeLenInByte = 4000
; TotalNumSgprs: 47
; NumVgprs: 40
; ScratchSize: 0
; MemoryBound: 0
; FloatMode: 240
; IeeeMode: 1
; LDSByteSize: 0 bytes/workgroup (compile time only)
; SGPRBlocks: 0
; VGPRBlocks: 2
; NumSGPRsForWavesPerEU: 47
; NumVGPRsForWavesPerEU: 40
; NamedBarCnt: 0
; Occupancy: 16
; WaveLimiterHint : 1
; COMPUTE_PGM_RSRC2:SCRATCH_EN: 0
; COMPUTE_PGM_RSRC2:USER_SGPR: 2
; COMPUTE_PGM_RSRC2:TRAP_HANDLER: 0
; COMPUTE_PGM_RSRC2:TGID_X_EN: 1
; COMPUTE_PGM_RSRC2:TGID_Y_EN: 0
; COMPUTE_PGM_RSRC2:TGID_Z_EN: 0
; COMPUTE_PGM_RSRC2:TIDIG_COMP_CNT: 0
	.section	.text._ZN9rocsparseL15bsrilu0_generalILj128ELj32ELb0EdEEv20rocsparse_direction_iPKiS3_PT2_S3_iPiS3_S6_21rocsparse_index_base_imNS_24const_host_device_scalarIfEENS8_IdEENS8_IS4_EEb,"axG",@progbits,_ZN9rocsparseL15bsrilu0_generalILj128ELj32ELb0EdEEv20rocsparse_direction_iPKiS3_PT2_S3_iPiS3_S6_21rocsparse_index_base_imNS_24const_host_device_scalarIfEENS8_IdEENS8_IS4_EEb,comdat
	.globl	_ZN9rocsparseL15bsrilu0_generalILj128ELj32ELb0EdEEv20rocsparse_direction_iPKiS3_PT2_S3_iPiS3_S6_21rocsparse_index_base_imNS_24const_host_device_scalarIfEENS8_IdEENS8_IS4_EEb ; -- Begin function _ZN9rocsparseL15bsrilu0_generalILj128ELj32ELb0EdEEv20rocsparse_direction_iPKiS3_PT2_S3_iPiS3_S6_21rocsparse_index_base_imNS_24const_host_device_scalarIfEENS8_IdEENS8_IS4_EEb
	.p2align	8
	.type	_ZN9rocsparseL15bsrilu0_generalILj128ELj32ELb0EdEEv20rocsparse_direction_iPKiS3_PT2_S3_iPiS3_S6_21rocsparse_index_base_imNS_24const_host_device_scalarIfEENS8_IdEENS8_IS4_EEb,@function
_ZN9rocsparseL15bsrilu0_generalILj128ELj32ELb0EdEEv20rocsparse_direction_iPKiS3_PT2_S3_iPiS3_S6_21rocsparse_index_base_imNS_24const_host_device_scalarIfEENS8_IdEENS8_IS4_EEb: ; @_ZN9rocsparseL15bsrilu0_generalILj128ELj32ELb0EdEEv20rocsparse_direction_iPKiS3_PT2_S3_iPiS3_S6_21rocsparse_index_base_imNS_24const_host_device_scalarIfEENS8_IdEENS8_IS4_EEb
; %bb.0:
	s_clause 0x2
	s_load_b32 s2, s[0:1], 0x70
	s_load_b64 s[6:7], s[0:1], 0x48
	s_load_b256 s[16:23], s[0:1], 0x50
	s_wait_kmcnt 0x0
	s_bitcmp1_b32 s2, 0
	s_cselect_b32 s2, -1, 0
	s_cmp_eq_u32 s7, 0
	s_cselect_b32 s4, -1, 0
	s_cmp_lg_u32 s7, 0
	s_cselect_b32 s26, -1, 0
	s_or_b32 s7, s4, s2
	s_delay_alu instid0(SALU_CYCLE_1)
	s_xor_b32 s5, s7, -1
	s_and_b32 s2, s4, exec_lo
	s_cselect_b32 s3, 0, s21
	s_cselect_b32 s2, 0, s20
	;; [unrolled: 1-line block ×3, first 2 shown]
	s_and_b32 vcc_lo, exec_lo, s7
	s_cbranch_vccnz .LBB8_2
; %bb.1:
	s_load_b32 s27, s[18:19], 0x0
	s_mov_b64 s[2:3], s[20:21]
.LBB8_2:
	s_delay_alu instid0(SALU_CYCLE_1)
	v_mov_b64_e32 v[6:7], s[2:3]
	v_cndmask_b32_e64 v1, 0, 1, s5
	s_and_not1_b32 vcc_lo, exec_lo, s5
	s_cbranch_vccnz .LBB8_4
; %bb.3:
	v_mov_b32_e32 v2, 0
	flat_load_b64 v[6:7], v2, s[20:21]
.LBB8_4:
	s_and_b32 s2, s4, exec_lo
	s_cselect_b32 s3, 0, s23
	s_cselect_b32 s2, 0, s22
	v_cmp_ne_u32_e32 vcc_lo, 1, v1
	v_mov_b64_e32 v[4:5], s[2:3]
	s_cbranch_vccnz .LBB8_6
; %bb.5:
	v_mov_b32_e32 v1, 0
	flat_load_b64 v[4:5], v1, s[22:23]
.LBB8_6:
	s_load_b64 s[24:25], s[0:1], 0x0
	s_bfe_u32 s2, ttmp6, 0x4000c
	s_and_b32 s3, ttmp6, 15
	s_add_co_i32 s2, s2, 1
	s_getreg_b32 s4, hwreg(HW_REG_IB_STS2, 6, 4)
	s_mul_i32 s2, ttmp9, s2
	v_lshrrev_b32_e32 v1, 5, v0
	s_add_co_i32 s3, s3, s2
	s_cmp_eq_u32 s4, 0
	s_cselect_b32 s2, ttmp9, s3
	s_delay_alu instid0(SALU_CYCLE_1) | instskip(NEXT) | instid1(SALU_CYCLE_1)
	s_lshl_b32 s2, s2, 2
	v_and_or_b32 v1, 0x7fffffc, s2, v1
	s_mov_b32 s2, exec_lo
	s_wait_kmcnt 0x0
	s_delay_alu instid0(VALU_DEP_1)
	v_cmpx_gt_i32_e64 s25, v1
	s_cbranch_execz .LBB8_139
; %bb.7:
	s_clause 0x2
	s_load_b128 s[20:23], s[0:1], 0x30
	s_load_b64 s[18:19], s[0:1], 0x40
	s_load_b256 s[8:15], s[0:1], 0x8
	s_mov_b32 s2, -1
	s_mov_b32 s5, exec_lo
	s_wait_kmcnt 0x0
	global_load_b32 v2, v1, s[22:23] scale_offset
	s_wait_loadcnt 0x0
	v_dual_ashrrev_i32 v3, 31, v2 :: v_dual_bitop2_b32 v18, 31, v0 bitop3:0x40
	global_load_b32 v20, v2, s[14:15] scale_offset
	s_wait_loadcnt 0x0
	v_cmpx_ne_u32_e32 -1, v20
	s_cbranch_execz .LBB8_133
; %bb.8:
	v_lshl_add_u64 v[0:1], v[2:3], 2, s[8:9]
	s_load_b32 s7, s[0:1], 0x28
	s_mov_b32 s2, 0
	s_mov_b32 s22, exec_lo
	global_load_b64 v[0:1], v[0:1], off
	s_wait_loadcnt 0x0
	v_subrev_nc_u32_e32 v21, s6, v0
	v_subrev_nc_u32_e32 v19, s6, v1
	s_delay_alu instid0(VALU_DEP_2)
	v_cmpx_lt_i32_e64 v21, v20
	s_cbranch_execz .LBB8_74
; %bb.9:
	s_wait_kmcnt 0x0
	v_mad_u32 v1, s7, v21, v18
	v_add_nc_u32_e32 v0, v21, v18
	s_cmp_gt_i32 s7, 0
	v_cmp_gt_i32_e64 s0, s7, v18
	v_cmp_le_i32_e64 s1, s7, v18
	s_cselect_b32 s28, -1, 0
	v_cmp_lt_i32_e64 s2, v0, v19
	s_cmp_lg_u32 s24, 0
	s_mov_b32 s34, 0
	s_mul_i32 s23, s7, s7
	s_cselect_b32 s29, -1, 0
	v_mul_lo_u32 v22, s7, v1
	v_ashrrev_i32_e32 v1, 31, v0
	s_add_co_i32 s25, s25, 1
	s_add_co_i32 s30, s7, 1
	s_lshl_b32 s31, s7, 5
	s_add_co_i32 s33, s7, -1
	v_lshl_add_u64 v[8:9], v[0:1], 2, s[10:11]
	s_mov_b32 s35, 0
                                        ; implicit-def: $sgpr36
                                        ; implicit-def: $sgpr37
	s_delay_alu instid0(VALU_DEP_3)
	v_add_nc_u32_e32 v1, 1, v22
	s_branch .LBB8_12
.LBB8_10:                               ;   in Loop: Header=BB8_12 Depth=1
	s_or_b32 exec_lo, exec_lo, s4
	s_delay_alu instid0(SALU_CYCLE_1) | instskip(SKIP_1) | instid1(SALU_CYCLE_1)
	s_and_not1_b32 s4, s37, exec_lo
	s_and_b32 s34, s34, exec_lo
	s_or_b32 s37, s4, s34
.LBB8_11:                               ;   in Loop: Header=BB8_12 Depth=1
	s_or_b32 exec_lo, exec_lo, s38
	v_dual_add_nc_u32 v21, 1, v21 :: v_dual_add_nc_u32 v22, s23, v22
	s_xor_b32 s3, s3, -1
	v_add_nc_u32_e32 v1, s23, v1
	s_mov_b32 s34, s37
	s_delay_alu instid0(VALU_DEP_2) | instskip(SKIP_1) | instid1(SALU_CYCLE_1)
	v_cmp_ge_i32_e32 vcc_lo, v21, v20
	s_or_b32 s3, s3, vcc_lo
	s_and_b32 s3, exec_lo, s3
	s_delay_alu instid0(SALU_CYCLE_1) | instskip(SKIP_2) | instid1(SALU_CYCLE_1)
	s_or_b32 s35, s3, s35
	s_and_not1_b32 s3, s36, exec_lo
	s_and_b32 s4, s37, exec_lo
	s_or_b32 s36, s3, s4
	s_and_not1_b32 exec_lo, exec_lo, s35
	s_cbranch_execz .LBB8_73
.LBB8_12:                               ; =>This Loop Header: Depth=1
                                        ;     Child Loop BB8_15 Depth 2
                                        ;     Child Loop BB8_20 Depth 2
                                        ;       Child Loop BB8_25 Depth 3
                                        ;         Child Loop BB8_34 Depth 4
                                        ;     Child Loop BB8_47 Depth 2
                                        ;       Child Loop BB8_52 Depth 3
                                        ;       Child Loop BB8_59 Depth 3
                                        ;         Child Loop BB8_61 Depth 4
                                        ;           Child Loop BB8_63 Depth 5
	s_wait_dscnt 0x0
	global_load_b32 v10, v21, s[10:11] scale_offset
	s_or_b32 s37, s37, exec_lo
	s_wait_loadcnt 0x0
	v_subrev_nc_u32_e32 v10, s6, v10
	global_load_b32 v24, v10, s[14:15] scale_offset
	s_wait_loadcnt 0x0
	v_cmp_ne_u32_e64 s3, -1, v24
	s_wait_xcnt 0x0
	s_and_saveexec_b32 s38, s3
	s_cbranch_execz .LBB8_11
; %bb.13:                               ;   in Loop: Header=BB8_12 Depth=1
	v_ashrrev_i32_e32 v11, 31, v10
	s_mov_b32 s4, exec_lo
	s_delay_alu instid0(VALU_DEP_1) | instskip(NEXT) | instid1(VALU_DEP_1)
	v_lshlrev_b64_e32 v[10:11], 2, v[10:11]
	v_add_nc_u64_e32 v[12:13], s[8:9], v[10:11]
	v_add_nc_u64_e32 v[10:11], s[20:21], v[10:11]
	global_load_b32 v25, v[12:13], off offset:4
	global_load_b32 v14, v[10:11], off scope:SCOPE_DEV
	s_wait_loadcnt 0x0
	s_wait_xcnt 0x0
	v_cmpx_eq_u32_e32 0, v14
	s_cbranch_execz .LBB8_16
; %bb.14:                               ;   in Loop: Header=BB8_12 Depth=1
	s_mov_b32 s39, 0
.LBB8_15:                               ;   Parent Loop BB8_12 Depth=1
                                        ; =>  This Inner Loop Header: Depth=2
	global_load_b32 v12, v[10:11], off scope:SCOPE_DEV
	s_wait_loadcnt 0x0
	v_cmp_ne_u32_e32 vcc_lo, 0, v12
	s_or_b32 s39, vcc_lo, s39
	s_wait_xcnt 0x0
	s_and_not1_b32 exec_lo, exec_lo, s39
	s_cbranch_execnz .LBB8_15
.LBB8_16:                               ;   in Loop: Header=BB8_12 Depth=1
	s_or_b32 exec_lo, exec_lo, s4
	v_mul_lo_u32 v23, v21, s7
	s_and_not1_b32 vcc_lo, exec_lo, s28
	s_wait_dscnt 0x0
	global_inv scope:SCOPE_DEV
	s_cbranch_vccnz .LBB8_43
; %bb.17:                               ;   in Loop: Header=BB8_12 Depth=1
	v_mul_lo_u32 v26, v24, s7
	v_mad_u32 v27, s23, v24, 1
	v_dual_mov_b32 v28, 0 :: v_dual_mov_b32 v29, v1
	s_mov_b32 s39, 0
	s_mov_b32 s40, s33
	s_branch .LBB8_20
.LBB8_18:                               ;   in Loop: Header=BB8_20 Depth=2
	s_or_b32 exec_lo, exec_lo, s42
	v_mov_b32_e32 v28, v30
.LBB8_19:                               ;   in Loop: Header=BB8_20 Depth=2
	s_or_b32 exec_lo, exec_lo, s41
	s_delay_alu instid0(VALU_DEP_1) | instskip(SKIP_3) | instid1(SALU_CYCLE_1)
	v_cmp_eq_u32_e32 vcc_lo, s7, v28
	v_dual_add_nc_u32 v27, s30, v27 :: v_dual_add_nc_u32 v29, 1, v29
	s_add_co_i32 s40, s40, -1
	s_or_b32 s39, vcc_lo, s39
	s_and_not1_b32 exec_lo, exec_lo, s39
	s_cbranch_execz .LBB8_42
.LBB8_20:                               ;   Parent Loop BB8_12 Depth=1
                                        ; =>  This Loop Header: Depth=2
                                        ;       Child Loop BB8_25 Depth 3
                                        ;         Child Loop BB8_34 Depth 4
	s_delay_alu instid0(VALU_DEP_1) | instskip(SKIP_1) | instid1(SALU_CYCLE_1)
	v_add_nc_u32_e32 v30, 1, v28
	s_and_saveexec_b32 s4, s1
	s_xor_b32 s4, exec_lo, s4
; %bb.21:                               ;   in Loop: Header=BB8_20 Depth=2
	v_add_nc_u32_e32 v28, 1, v28
                                        ; implicit-def: $vgpr30
; %bb.22:                               ;   in Loop: Header=BB8_20 Depth=2
	s_and_not1_saveexec_b32 s41, s4
	s_cbranch_execz .LBB8_19
; %bb.23:                               ;   in Loop: Header=BB8_20 Depth=2
	s_delay_alu instid0(VALU_DEP_1) | instskip(SKIP_2) | instid1(VALU_DEP_3)
	v_dual_add_nc_u32 v10, v28, v26 :: v_dual_add_nc_u32 v12, v28, v23
	v_cmp_gt_i32_e64 s4, s7, v30
	v_dual_mov_b32 v32, v29 :: v_dual_mov_b32 v33, v18
	v_mad_u32 v10, v10, s7, v28
	s_delay_alu instid0(VALU_DEP_4)
	v_mul_lo_u32 v31, v12, s7
	s_mov_b32 s42, 0
	global_load_b64 v[10:11], v10, s[12:13] scale_offset
	s_branch .LBB8_25
.LBB8_24:                               ;   in Loop: Header=BB8_25 Depth=3
	s_wait_xcnt 0x0
	s_or_b32 exec_lo, exec_lo, s43
	v_dual_add_nc_u32 v33, 32, v33 :: v_dual_add_nc_u32 v32, s31, v32
	s_delay_alu instid0(VALU_DEP_1) | instskip(SKIP_1) | instid1(SALU_CYCLE_1)
	v_cmp_le_i32_e32 vcc_lo, s7, v33
	s_or_b32 s42, vcc_lo, s42
	s_and_not1_b32 exec_lo, exec_lo, s42
	s_cbranch_execz .LBB8_18
.LBB8_25:                               ;   Parent Loop BB8_12 Depth=1
                                        ;     Parent Loop BB8_20 Depth=2
                                        ; =>    This Loop Header: Depth=3
                                        ;         Child Loop BB8_34 Depth 4
	v_add_nc_u32_e32 v14, v33, v31
	s_and_b32 vcc_lo, exec_lo, s29
	s_cbranch_vccz .LBB8_40
; %bb.26:                               ;   in Loop: Header=BB8_25 Depth=3
	v_add_nc_u32_e32 v12, v33, v31
	v_add_nc_u32_e32 v13, v33, v23
	s_delay_alu instid0(VALU_DEP_1)
	v_mad_u32 v15, v13, s7, v28
	s_cbranch_execnz .LBB8_28
.LBB8_27:                               ;   in Loop: Header=BB8_25 Depth=3
	v_mad_u32 v12, v13, s7, v28
.LBB8_28:                               ;   in Loop: Header=BB8_25 Depth=3
	global_load_b64 v[12:13], v12, s[12:13] scale_offset
	s_and_b32 vcc_lo, exec_lo, s29
	s_cbranch_vccz .LBB8_41
; %bb.29:                               ;   in Loop: Header=BB8_25 Depth=3
	s_cbranch_execnz .LBB8_31
.LBB8_30:                               ;   in Loop: Header=BB8_25 Depth=3
	v_mov_b32_e32 v14, v15
.LBB8_31:                               ;   in Loop: Header=BB8_25 Depth=3
	s_wait_loadcnt 0x0
	v_div_scale_f64 v[16:17], null, v[10:11], v[10:11], v[12:13]
	s_delay_alu instid0(VALU_DEP_1) | instskip(SKIP_1) | instid1(TRANS32_DEP_1)
	v_rcp_f64_e32 v[34:35], v[16:17]
	v_nop
	v_fma_f64 v[36:37], -v[16:17], v[34:35], 1.0
	s_delay_alu instid0(VALU_DEP_1) | instskip(NEXT) | instid1(VALU_DEP_1)
	v_fmac_f64_e32 v[34:35], v[34:35], v[36:37]
	v_fma_f64 v[36:37], -v[16:17], v[34:35], 1.0
	s_delay_alu instid0(VALU_DEP_1) | instskip(SKIP_1) | instid1(VALU_DEP_1)
	v_fmac_f64_e32 v[34:35], v[34:35], v[36:37]
	v_div_scale_f64 v[36:37], vcc_lo, v[12:13], v[10:11], v[12:13]
	v_mul_f64_e32 v[38:39], v[36:37], v[34:35]
	s_delay_alu instid0(VALU_DEP_1) | instskip(NEXT) | instid1(VALU_DEP_1)
	v_fma_f64 v[16:17], -v[16:17], v[38:39], v[36:37]
	v_div_fmas_f64 v[16:17], v[16:17], v[34:35], v[38:39]
	s_wait_xcnt 0x0
	s_delay_alu instid0(VALU_DEP_1)
	v_div_fixup_f64 v[12:13], v[16:17], v[10:11], v[12:13]
	global_store_b64 v14, v[12:13], s[12:13] scale_offset
	s_wait_xcnt 0x0
	s_and_saveexec_b32 s43, s4
	s_cbranch_execz .LBB8_24
; %bb.32:                               ;   in Loop: Header=BB8_25 Depth=3
	v_dual_mov_b32 v34, v32 :: v_dual_mov_b32 v35, v27
	v_mov_b32_e32 v36, v30
	s_mov_b32 s44, s40
	s_branch .LBB8_34
.LBB8_33:                               ;   in Loop: Header=BB8_34 Depth=4
	s_wait_loadcnt 0x0
	s_wait_xcnt 0x1
	v_dual_fma_f64 v[14:15], -v[12:13], v[14:15], v[16:17] :: v_dual_add_nc_u32 v36, 1, v36
	v_dual_add_nc_u32 v35, 1, v35 :: v_dual_add_nc_u32 v34, 1, v34
	s_add_co_i32 s44, s44, -1
	s_delay_alu instid0(SALU_CYCLE_1)
	s_cmp_eq_u32 s44, 0
	global_store_b64 v38, v[14:15], s[12:13] scale_offset
	s_cbranch_scc1 .LBB8_24
.LBB8_34:                               ;   Parent Loop BB8_12 Depth=1
                                        ;     Parent Loop BB8_20 Depth=2
                                        ;       Parent Loop BB8_25 Depth=3
                                        ; =>      This Inner Loop Header: Depth=4
	s_wait_xcnt 0x0
	v_mov_b32_e32 v14, v35
	s_and_not1_b32 vcc_lo, exec_lo, s29
	s_cbranch_vccnz .LBB8_36
; %bb.35:                               ;   in Loop: Header=BB8_34 Depth=4
	v_add_nc_u32_e32 v14, v36, v26
	s_delay_alu instid0(VALU_DEP_1)
	v_mad_u32 v14, v14, s7, v28
.LBB8_36:                               ;   in Loop: Header=BB8_34 Depth=4
	global_load_b64 v[14:15], v14, s[12:13] scale_offset
	v_dual_mov_b32 v17, v34 :: v_dual_add_nc_u32 v16, v36, v23
	s_and_not1_b32 vcc_lo, exec_lo, s29
	s_delay_alu instid0(VALU_DEP_1)
	v_mad_u32 v37, v16, s7, v33
	s_cbranch_vccnz .LBB8_38
; %bb.37:                               ;   in Loop: Header=BB8_34 Depth=4
	v_mad_u32 v17, v16, s7, v33
.LBB8_38:                               ;   in Loop: Header=BB8_34 Depth=4
	global_load_b64 v[16:17], v17, s[12:13] scale_offset
	v_mov_b32_e32 v38, v34
	s_and_not1_b32 vcc_lo, exec_lo, s29
	s_cbranch_vccnz .LBB8_33
; %bb.39:                               ;   in Loop: Header=BB8_34 Depth=4
	v_mov_b32_e32 v38, v37
	s_branch .LBB8_33
.LBB8_40:                               ;   in Loop: Header=BB8_25 Depth=3
                                        ; implicit-def: $vgpr12
	v_add_nc_u32_e32 v13, v33, v23
	s_delay_alu instid0(VALU_DEP_1)
	v_mad_u32 v15, v13, s7, v28
	s_branch .LBB8_27
.LBB8_41:                               ;   in Loop: Header=BB8_25 Depth=3
                                        ; implicit-def: $vgpr14
	s_branch .LBB8_30
.LBB8_42:                               ;   in Loop: Header=BB8_12 Depth=1
	s_or_b32 exec_lo, exec_lo, s39
.LBB8_43:                               ;   in Loop: Header=BB8_12 Depth=1
	v_subrev_nc_u32_e32 v14, s6, v25
	v_add_nc_u32_e32 v15, 1, v24
	s_mov_b32 s4, exec_lo
	s_delay_alu instid0(VALU_DEP_1)
	v_cmpx_lt_i32_e64 v15, v14
	s_cbranch_execz .LBB8_10
; %bb.44:                               ;   in Loop: Header=BB8_12 Depth=1
	v_mul_lo_u32 v16, s23, v15
	s_mov_b32 s39, 0
	s_branch .LBB8_47
.LBB8_45:                               ;   in Loop: Header=BB8_47 Depth=2
	s_or_b32 exec_lo, exec_lo, s40
.LBB8_46:                               ;   in Loop: Header=BB8_47 Depth=2
	v_dual_add_nc_u32 v15, 1, v15 :: v_dual_add_nc_u32 v16, s23, v16
	s_delay_alu instid0(VALU_DEP_1) | instskip(SKIP_1) | instid1(SALU_CYCLE_1)
	v_cmp_ge_i32_e32 vcc_lo, v15, v14
	s_or_b32 s39, vcc_lo, s39
	s_and_not1_b32 exec_lo, exec_lo, s39
	s_cbranch_execz .LBB8_10
.LBB8_47:                               ;   Parent Loop BB8_12 Depth=1
                                        ; =>  This Loop Header: Depth=2
                                        ;       Child Loop BB8_52 Depth 3
                                        ;       Child Loop BB8_59 Depth 3
                                        ;         Child Loop BB8_61 Depth 4
                                        ;           Child Loop BB8_63 Depth 5
	s_wait_dscnt 0x0
	global_load_b32 v10, v15, s[10:11] scale_offset
	v_mov_b32_e32 v11, s25
	s_wait_xcnt 0x0
	s_and_saveexec_b32 s40, s2
	s_cbranch_execz .LBB8_49
; %bb.48:                               ;   in Loop: Header=BB8_47 Depth=2
	global_load_b32 v11, v[8:9], off
	s_wait_loadcnt 0x0
	v_subrev_nc_u32_e32 v11, s6, v11
.LBB8_49:                               ;   in Loop: Header=BB8_47 Depth=2
	s_wait_xcnt 0x0
	s_or_b32 exec_lo, exec_lo, s40
	s_wait_loadcnt 0x0
	v_subrev_nc_u32_e32 v10, s6, v10
	v_mov_b32_e32 v12, v0
	s_mov_b32 s40, exec_lo
	s_delay_alu instid0(VALU_DEP_2)
	v_cmpx_lt_i32_e64 v11, v10
	s_cbranch_execz .LBB8_55
; %bb.50:                               ;   in Loop: Header=BB8_47 Depth=2
	v_mov_b32_e32 v13, v0
	s_mov_b32 s41, 0
	s_branch .LBB8_52
.LBB8_51:                               ;   in Loop: Header=BB8_52 Depth=3
	s_wait_xcnt 0x0
	s_or_b32 exec_lo, exec_lo, s42
	s_delay_alu instid0(VALU_DEP_1) | instskip(SKIP_2) | instid1(SALU_CYCLE_1)
	v_cmp_ge_i32_e32 vcc_lo, v11, v10
	v_mov_b32_e32 v13, v12
	s_or_b32 s41, vcc_lo, s41
	s_and_not1_b32 exec_lo, exec_lo, s41
	s_cbranch_execz .LBB8_54
.LBB8_52:                               ;   Parent Loop BB8_12 Depth=1
                                        ;     Parent Loop BB8_47 Depth=2
                                        ; =>    This Inner Loop Header: Depth=3
	s_delay_alu instid0(VALU_DEP_1) | instskip(SKIP_1) | instid1(VALU_DEP_1)
	v_dual_mov_b32 v11, s25 :: v_dual_add_nc_u32 v12, 32, v13
	s_mov_b32 s42, exec_lo
	v_cmpx_lt_i32_e64 v12, v19
	s_cbranch_execz .LBB8_51
; %bb.53:                               ;   in Loop: Header=BB8_52 Depth=3
	global_load_b32 v11, v13, s[10:11] offset:128 scale_offset
	s_wait_loadcnt 0x0
	v_subrev_nc_u32_e32 v11, s6, v11
	s_branch .LBB8_51
.LBB8_54:                               ;   in Loop: Header=BB8_47 Depth=2
	s_or_b32 exec_lo, exec_lo, s41
.LBB8_55:                               ;   in Loop: Header=BB8_47 Depth=2
	s_delay_alu instid0(SALU_CYCLE_1)
	s_or_b32 exec_lo, exec_lo, s40
	v_cmp_eq_u32_e32 vcc_lo, v11, v10
	s_cbranch_vccz .LBB8_46
; %bb.56:                               ;   in Loop: Header=BB8_47 Depth=2
	s_ctz_i32_b32 s40, vcc_lo
	s_delay_alu instid0(SALU_CYCLE_1) | instskip(NEXT) | instid1(SALU_CYCLE_1)
	s_lshl_b32 s40, s40, 2
	v_mov_b32_e32 v10, s40
	ds_bpermute_b32 v10, v10, v12
	s_and_saveexec_b32 s40, s0
	s_cbranch_execz .LBB8_45
; %bb.57:                               ;   in Loop: Header=BB8_47 Depth=2
	v_mul_lo_u32 v17, v15, s7
	s_wait_dscnt 0x0
	v_mul_lo_u32 v24, v10, s7
	v_dual_mov_b32 v25, v22 :: v_dual_mov_b32 v26, v18
	s_mov_b32 s41, 0
	s_branch .LBB8_59
.LBB8_58:                               ;   in Loop: Header=BB8_59 Depth=3
	v_dual_add_nc_u32 v26, 32, v26 :: v_dual_add_nc_u32 v25, s31, v25
	s_delay_alu instid0(VALU_DEP_1)
	v_cmp_le_i32_e32 vcc_lo, s7, v26
	s_or_b32 s41, vcc_lo, s41
	s_wait_xcnt 0x0
	s_and_not1_b32 exec_lo, exec_lo, s41
	s_cbranch_execz .LBB8_45
.LBB8_59:                               ;   Parent Loop BB8_12 Depth=1
                                        ;     Parent Loop BB8_47 Depth=2
                                        ; =>    This Loop Header: Depth=3
                                        ;         Child Loop BB8_61 Depth 4
                                        ;           Child Loop BB8_63 Depth 5
	s_delay_alu instid0(VALU_DEP_1) | instskip(SKIP_1) | instid1(VALU_DEP_1)
	v_dual_add_nc_u32 v10, v26, v24 :: v_dual_mov_b32 v28, v16
	s_mov_b32 s42, 0
	v_mul_lo_u32 v27, v10, s7
	s_branch .LBB8_61
.LBB8_60:                               ;   in Loop: Header=BB8_61 Depth=4
	global_load_b64 v[30:31], v12, s[12:13] scale_offset
	s_add_co_i32 s42, s42, 1
	v_add_nc_u32_e32 v28, 1, v28
	s_cmp_eq_u32 s42, s7
	s_wait_loadcnt 0x0
	v_add_f64_e64 v[10:11], v[30:31], -v[10:11]
	global_store_b64 v12, v[10:11], s[12:13] scale_offset
	s_cbranch_scc1 .LBB8_58
.LBB8_61:                               ;   Parent Loop BB8_12 Depth=1
                                        ;     Parent Loop BB8_47 Depth=2
                                        ;       Parent Loop BB8_59 Depth=3
                                        ; =>      This Loop Header: Depth=4
                                        ;           Child Loop BB8_63 Depth 5
	s_wait_xcnt 0x0
	v_dual_add_nc_u32 v10, s42, v17 :: v_dual_mov_b32 v30, v28
	s_mov_b32 s43, 0
	s_delay_alu instid0(VALU_DEP_1)
	v_mul_lo_u32 v29, v10, s7
	v_mov_b64_e32 v[10:11], 0
	s_branch .LBB8_63
.LBB8_62:                               ;   in Loop: Header=BB8_63 Depth=5
	global_load_b64 v[32:33], v31, s[12:13] scale_offset
	v_add_nc_u32_e32 v30, s7, v30
	s_add_co_i32 s43, s43, 1
	s_delay_alu instid0(SALU_CYCLE_1)
	s_cmp_eq_u32 s7, s43
	s_wait_loadcnt 0x0
	v_fmac_f64_e32 v[10:11], v[12:13], v[32:33]
	s_cbranch_scc1 .LBB8_69
.LBB8_63:                               ;   Parent Loop BB8_12 Depth=1
                                        ;     Parent Loop BB8_47 Depth=2
                                        ;       Parent Loop BB8_59 Depth=3
                                        ;         Parent Loop BB8_61 Depth=4
                                        ; =>        This Inner Loop Header: Depth=5
	s_and_b32 vcc_lo, exec_lo, s29
	s_cbranch_vccz .LBB8_68
; %bb.64:                               ;   in Loop: Header=BB8_63 Depth=5
	s_wait_xcnt 0x1
	v_add_nc_u32_e32 v12, s43, v23
	s_delay_alu instid0(VALU_DEP_1)
	v_mad_u32 v12, v12, s7, v26
	s_cbranch_execnz .LBB8_66
.LBB8_65:                               ;   in Loop: Header=BB8_63 Depth=5
	s_wait_xcnt 0x1
	v_add_nc_u32_e32 v12, s43, v25
.LBB8_66:                               ;   in Loop: Header=BB8_63 Depth=5
	global_load_b64 v[12:13], v12, s[12:13] scale_offset
	s_wait_xcnt 0x1
	v_mov_b32_e32 v31, v30
	s_and_not1_b32 vcc_lo, exec_lo, s29
	s_cbranch_vccnz .LBB8_62
; %bb.67:                               ;   in Loop: Header=BB8_63 Depth=5
	v_add_nc_u32_e32 v31, s43, v29
	s_branch .LBB8_62
.LBB8_68:                               ;   in Loop: Header=BB8_63 Depth=5
                                        ; implicit-def: $vgpr12
	s_branch .LBB8_65
.LBB8_69:                               ;   in Loop: Header=BB8_61 Depth=4
	s_and_b32 vcc_lo, exec_lo, s29
	s_cbranch_vccz .LBB8_71
; %bb.70:                               ;   in Loop: Header=BB8_61 Depth=4
	s_wait_xcnt 0x1
	v_add_nc_u32_e32 v12, s42, v24
	s_delay_alu instid0(VALU_DEP_1)
	v_mad_u32 v12, v12, s7, v26
	s_cbranch_execnz .LBB8_60
	s_branch .LBB8_72
.LBB8_71:                               ;   in Loop: Header=BB8_61 Depth=4
                                        ; implicit-def: $vgpr12
.LBB8_72:                               ;   in Loop: Header=BB8_61 Depth=4
	s_wait_xcnt 0x1
	v_add_nc_u32_e32 v12, s42, v27
	s_branch .LBB8_60
.LBB8_73:
	s_or_b32 exec_lo, exec_lo, s35
	s_delay_alu instid0(SALU_CYCLE_1)
	s_and_b32 s2, s36, exec_lo
.LBB8_74:
	s_or_b32 exec_lo, exec_lo, s22
	global_load_b32 v0, v20, s[10:11] scale_offset
	s_wait_kmcnt 0x0
	s_cmp_gt_i32 s7, 0
	s_mov_b32 s8, 0
	s_cselect_b32 s3, -1, 0
	s_wait_loadcnt 0x0
	v_subrev_nc_u32_e32 v0, s6, v0
	s_delay_alu instid0(VALU_DEP_1)
	v_cmp_eq_u32_e32 vcc_lo, v0, v2
	s_and_b32 s0, s3, vcc_lo
	s_wait_xcnt 0x0
	s_and_saveexec_b32 s4, s0
	s_cbranch_execz .LBB8_108
; %bb.75:
	v_cvt_f64_f32_e32 v[0:1], s27
	v_mul_lo_u32 v14, v20, s7
	s_cmp_eq_u64 s[16:17], 8
	s_mul_i32 s0, s7, s7
	s_cselect_b32 vcc_lo, -1, 0
	s_cmp_lg_u32 s24, 0
	v_mad_u32 v15, v20, s0, 1
	s_cselect_b32 s9, -1, 0
	s_add_co_i32 s10, s7, 1
	v_cmp_eq_u32_e64 s0, 0, v18
	s_lshl_b32 s11, s7, 5
	v_dual_mov_b32 v17, 0 :: v_dual_add_nc_u32 v8, v14, v18
	s_add_co_i32 s14, s7, -1
	s_mov_b32 s16, s2
                                        ; implicit-def: $sgpr15
	s_delay_alu instid0(VALU_DEP_1)
	v_mad_u32 v16, s7, v8, s10
	s_wait_dscnt 0x0
	v_dual_cndmask_b32 v1, v1, v7 :: v_dual_cndmask_b32 v0, v0, v6
	s_branch .LBB8_77
.LBB8_76:                               ;   in Loop: Header=BB8_77 Depth=1
	s_or_b32 exec_lo, exec_lo, s1
	s_delay_alu instid0(VALU_DEP_1)
	v_cmp_eq_u32_e32 vcc_lo, s7, v22
	s_add_co_i32 s14, s14, -1
	v_dual_add_nc_u32 v15, s10, v15 :: v_dual_add_nc_u32 v16, s10, v16
	v_mov_b32_e32 v17, v22
	s_or_b32 s8, vcc_lo, s8
	s_and_not1_b32 s1, s15, exec_lo
	s_and_b32 s15, s16, exec_lo
	s_delay_alu instid0(SALU_CYCLE_1)
	s_or_b32 s15, s1, s15
	s_and_not1_b32 exec_lo, exec_lo, s8
	s_cbranch_execz .LBB8_107
.LBB8_77:                               ; =>This Loop Header: Depth=1
                                        ;     Child Loop BB8_87 Depth 2
                                        ;       Child Loop BB8_96 Depth 3
	v_add_nc_u32_e32 v6, v17, v14
	s_mov_b32 s17, 0
	s_and_not1_b32 vcc_lo, exec_lo, s26
	s_mov_b32 s1, 0
	s_mov_b32 s22, -1
	v_mul_lo_u32 v21, v6, s7
                                        ; implicit-def: $vgpr8_vgpr9
	s_delay_alu instid0(VALU_DEP_1)
	v_add_nc_u32_e32 v10, v21, v17
	global_load_b64 v[6:7], v10, s[12:13] scale_offset
	s_cbranch_vccnz .LBB8_81
; %bb.78:                               ;   in Loop: Header=BB8_77 Depth=1
	s_wait_loadcnt 0x0
	v_cmp_ge_f64_e64 vcc_lo, v[0:1], |v[6:7]|
	v_dual_cndmask_b32 v9, v7, v5 :: v_dual_cndmask_b32 v8, v6, v4
	s_wait_xcnt 0x0
	s_and_saveexec_b32 s1, s0
	s_cbranch_execz .LBB8_80
; %bb.79:                               ;   in Loop: Header=BB8_77 Depth=1
	v_ashrrev_i32_e32 v11, 31, v10
	s_delay_alu instid0(VALU_DEP_1)
	v_lshl_add_u64 v[10:11], v[10:11], 3, s[12:13]
	global_store_b64 v[10:11], v[8:9], off
.LBB8_80:                               ;   in Loop: Header=BB8_77 Depth=1
	s_wait_xcnt 0x0
	s_or_b32 exec_lo, exec_lo, s1
	s_mov_b32 s22, 0
	s_mov_b32 s1, -1
.LBB8_81:                               ;   in Loop: Header=BB8_77 Depth=1
	s_and_not1_b32 vcc_lo, exec_lo, s22
	s_cbranch_vccnz .LBB8_83
; %bb.82:                               ;   in Loop: Header=BB8_77 Depth=1
	s_wait_loadcnt 0x0
	v_cmp_neq_f64_e32 vcc_lo, 0, v[6:7]
	s_and_not1_b32 s1, s1, exec_lo
	s_mov_b32 s17, -1
	s_and_b32 s22, vcc_lo, exec_lo
	s_delay_alu instid0(SALU_CYCLE_1) | instskip(SKIP_2) | instid1(SALU_CYCLE_1)
	s_or_b32 s1, s1, s22
                                        ; implicit-def: $vgpr22
	s_wait_xcnt 0x0
	s_and_saveexec_b32 s22, s1
	s_xor_b32 s22, exec_lo, s22
	s_cbranch_execnz .LBB8_84
	s_branch .LBB8_105
.LBB8_83:                               ;   in Loop: Header=BB8_77 Depth=1
	s_wait_loadcnt 0x0
	v_mov_b64_e32 v[6:7], v[8:9]
                                        ; implicit-def: $vgpr22
	s_wait_xcnt 0x0
	s_and_saveexec_b32 s22, s1
	s_delay_alu instid0(SALU_CYCLE_1)
	s_xor_b32 s22, exec_lo, s22
	s_cbranch_execz .LBB8_105
.LBB8_84:                               ;   in Loop: Header=BB8_77 Depth=1
	v_add_nc_u32_e32 v22, 1, v17
	s_mov_b32 s23, exec_lo
	s_delay_alu instid0(VALU_DEP_1) | instskip(NEXT) | instid1(VALU_DEP_1)
	v_add_nc_u32_e32 v23, v22, v18
	v_cmpx_gt_i32_e64 s7, v23
	s_cbranch_execz .LBB8_104
; %bb.85:                               ;   in Loop: Header=BB8_77 Depth=1
	v_cmp_gt_i32_e64 s1, s7, v22
	v_mov_b32_e32 v24, v16
	s_mov_b32 s25, 0
	s_branch .LBB8_87
.LBB8_86:                               ;   in Loop: Header=BB8_87 Depth=2
	s_wait_xcnt 0x0
	s_or_b32 exec_lo, exec_lo, s27
	v_dual_add_nc_u32 v23, 32, v23 :: v_dual_add_nc_u32 v24, s11, v24
	s_delay_alu instid0(VALU_DEP_1) | instskip(SKIP_1) | instid1(SALU_CYCLE_1)
	v_cmp_le_i32_e32 vcc_lo, s7, v23
	s_or_b32 s25, vcc_lo, s25
	s_and_not1_b32 exec_lo, exec_lo, s25
	s_cbranch_execz .LBB8_104
.LBB8_87:                               ;   Parent Loop BB8_77 Depth=1
                                        ; =>  This Loop Header: Depth=2
                                        ;       Child Loop BB8_96 Depth 3
	v_add_nc_u32_e32 v10, v23, v21
	s_and_b32 vcc_lo, exec_lo, s9
	s_cbranch_vccz .LBB8_102
; %bb.88:                               ;   in Loop: Header=BB8_87 Depth=2
	v_add_nc_u32_e32 v8, v23, v21
	s_cbranch_execnz .LBB8_90
.LBB8_89:                               ;   in Loop: Header=BB8_87 Depth=2
	v_add_nc_u32_e32 v8, v23, v14
	s_delay_alu instid0(VALU_DEP_1)
	v_mad_u32 v8, v8, s7, v17
.LBB8_90:                               ;   in Loop: Header=BB8_87 Depth=2
	global_load_b64 v[8:9], v8, s[12:13] scale_offset
	s_and_b32 vcc_lo, exec_lo, s9
	s_cbranch_vccz .LBB8_103
; %bb.91:                               ;   in Loop: Header=BB8_87 Depth=2
	s_cbranch_execnz .LBB8_93
.LBB8_92:                               ;   in Loop: Header=BB8_87 Depth=2
	v_add_nc_u32_e32 v10, v23, v14
	s_delay_alu instid0(VALU_DEP_1)
	v_mad_u32 v10, v10, s7, v17
.LBB8_93:                               ;   in Loop: Header=BB8_87 Depth=2
	s_wait_loadcnt 0x0
	v_div_scale_f64 v[12:13], null, v[6:7], v[6:7], v[8:9]
	s_delay_alu instid0(VALU_DEP_1) | instskip(SKIP_1) | instid1(TRANS32_DEP_1)
	v_rcp_f64_e32 v[26:27], v[12:13]
	v_nop
	v_fma_f64 v[28:29], -v[12:13], v[26:27], 1.0
	s_delay_alu instid0(VALU_DEP_1) | instskip(NEXT) | instid1(VALU_DEP_1)
	v_fmac_f64_e32 v[26:27], v[26:27], v[28:29]
	v_fma_f64 v[28:29], -v[12:13], v[26:27], 1.0
	s_delay_alu instid0(VALU_DEP_1) | instskip(SKIP_1) | instid1(VALU_DEP_1)
	v_fmac_f64_e32 v[26:27], v[26:27], v[28:29]
	v_div_scale_f64 v[28:29], vcc_lo, v[8:9], v[6:7], v[8:9]
	v_mul_f64_e32 v[30:31], v[28:29], v[26:27]
	s_delay_alu instid0(VALU_DEP_1) | instskip(NEXT) | instid1(VALU_DEP_1)
	v_fma_f64 v[12:13], -v[12:13], v[30:31], v[28:29]
	v_div_fmas_f64 v[12:13], v[12:13], v[26:27], v[30:31]
	s_wait_xcnt 0x0
	s_delay_alu instid0(VALU_DEP_1)
	v_div_fixup_f64 v[8:9], v[12:13], v[6:7], v[8:9]
	global_store_b64 v10, v[8:9], s[12:13] scale_offset
	s_wait_xcnt 0x0
	s_and_saveexec_b32 s27, s1
	s_cbranch_execz .LBB8_86
; %bb.94:                               ;   in Loop: Header=BB8_87 Depth=2
	v_dual_mov_b32 v25, v24 :: v_dual_mov_b32 v26, v15
	v_mov_b32_e32 v27, v22
	s_mov_b32 s28, s14
	s_branch .LBB8_96
.LBB8_95:                               ;   in Loop: Header=BB8_96 Depth=3
	s_wait_loadcnt 0x0
	s_wait_xcnt 0x1
	v_dual_fma_f64 v[10:11], -v[8:9], v[10:11], v[12:13] :: v_dual_add_nc_u32 v25, 1, v25
	v_dual_add_nc_u32 v27, 1, v27 :: v_dual_add_nc_u32 v26, 1, v26
	s_add_co_i32 s28, s28, -1
	s_delay_alu instid0(SALU_CYCLE_1)
	s_cmp_eq_u32 s28, 0
	global_store_b64 v29, v[10:11], s[12:13] scale_offset
	s_cbranch_scc1 .LBB8_86
.LBB8_96:                               ;   Parent Loop BB8_77 Depth=1
                                        ;     Parent Loop BB8_87 Depth=2
                                        ; =>    This Inner Loop Header: Depth=3
	s_wait_xcnt 0x0
	s_delay_alu instid0(VALU_DEP_1)
	v_dual_add_nc_u32 v12, v27, v14 :: v_dual_mov_b32 v10, v26
	s_and_not1_b32 vcc_lo, exec_lo, s9
	s_cbranch_vccnz .LBB8_98
; %bb.97:                               ;   in Loop: Header=BB8_96 Depth=3
	s_delay_alu instid0(VALU_DEP_1)
	v_mad_u32 v10, v12, s7, v17
.LBB8_98:                               ;   in Loop: Header=BB8_96 Depth=3
	global_load_b64 v[10:11], v10, s[12:13] scale_offset
	v_mad_u32 v28, v12, s7, v23
	v_mov_b32_e32 v13, v25
	s_and_not1_b32 vcc_lo, exec_lo, s9
	s_cbranch_vccnz .LBB8_100
; %bb.99:                               ;   in Loop: Header=BB8_96 Depth=3
	v_mad_u32 v13, v12, s7, v23
.LBB8_100:                              ;   in Loop: Header=BB8_96 Depth=3
	global_load_b64 v[12:13], v13, s[12:13] scale_offset
	v_mov_b32_e32 v29, v25
	s_and_not1_b32 vcc_lo, exec_lo, s9
	s_cbranch_vccnz .LBB8_95
; %bb.101:                              ;   in Loop: Header=BB8_96 Depth=3
	v_mov_b32_e32 v29, v28
	s_branch .LBB8_95
.LBB8_102:                              ;   in Loop: Header=BB8_87 Depth=2
                                        ; implicit-def: $vgpr8
	s_branch .LBB8_89
.LBB8_103:                              ;   in Loop: Header=BB8_87 Depth=2
                                        ; implicit-def: $vgpr10
	s_branch .LBB8_92
.LBB8_104:                              ;   in Loop: Header=BB8_77 Depth=1
	s_or_b32 exec_lo, exec_lo, s23
	s_delay_alu instid0(SALU_CYCLE_1)
	s_and_not1_b32 s17, s17, exec_lo
.LBB8_105:                              ;   in Loop: Header=BB8_77 Depth=1
	s_or_b32 exec_lo, exec_lo, s22
	s_delay_alu instid0(SALU_CYCLE_1) | instskip(SKIP_1) | instid1(SALU_CYCLE_1)
	s_and_not1_b32 s1, s16, exec_lo
	s_and_b32 s16, s16, exec_lo
	s_or_b32 s16, s1, s16
	s_and_saveexec_b32 s1, s17
	s_cbranch_execz .LBB8_76
; %bb.106:                              ;   in Loop: Header=BB8_77 Depth=1
	v_add_nc_u32_e32 v22, 1, v17
	s_or_b32 s16, s16, exec_lo
	s_branch .LBB8_76
.LBB8_107:
	s_or_b32 exec_lo, exec_lo, s8
	s_delay_alu instid0(SALU_CYCLE_1) | instskip(SKIP_1) | instid1(SALU_CYCLE_1)
	s_and_not1_b32 s0, s2, exec_lo
	s_and_b32 s1, s15, exec_lo
	s_or_b32 s2, s0, s1
.LBB8_108:
	s_or_b32 exec_lo, exec_lo, s4
	v_add_nc_u32_e32 v8, 1, v20
	s_mov_b32 s1, exec_lo
	s_delay_alu instid0(VALU_DEP_1)
	v_cmpx_lt_i32_e64 v8, v19
	s_cbranch_execz .LBB8_132
; %bb.109:
	v_mul_lo_u32 v9, v20, s7
	s_mul_i32 s4, s7, s7
	v_cmp_gt_i32_e64 s0, s7, v18
	v_mul_lo_u32 v0, s4, v8
	s_cmp_lg_u32 s24, 0
	s_mov_b32 s8, 0
	s_cselect_b32 s9, -1, 0
	s_add_co_i32 s10, s7, 1
	s_add_co_i32 s11, s7, -1
	s_wait_dscnt 0x0
	v_mad_u32 v10, s7, v9, s7
	s_delay_alu instid0(VALU_DEP_2)
	v_add3_u32 v11, v0, s7, v18
	s_branch .LBB8_111
.LBB8_110:                              ;   in Loop: Header=BB8_111 Depth=1
	s_delay_alu instid0(VALU_DEP_1) | instskip(NEXT) | instid1(VALU_DEP_1)
	v_dual_add_nc_u32 v8, 1, v8 :: v_dual_add_nc_u32 v11, s4, v11
	v_cmp_ge_i32_e32 vcc_lo, v8, v19
	s_or_b32 s8, vcc_lo, s8
	s_delay_alu instid0(SALU_CYCLE_1)
	s_and_not1_b32 exec_lo, exec_lo, s8
	s_cbranch_execz .LBB8_132
.LBB8_111:                              ; =>This Loop Header: Depth=1
                                        ;     Child Loop BB8_114 Depth 2
                                        ;       Child Loop BB8_117 Depth 3
                                        ;         Child Loop BB8_120 Depth 4
	s_and_not1_b32 vcc_lo, exec_lo, s3
	s_cbranch_vccnz .LBB8_110
; %bb.112:                              ;   in Loop: Header=BB8_111 Depth=1
	v_mul_lo_u32 v12, v8, s7
	s_delay_alu instid0(VALU_DEP_3)
	v_dual_mov_b32 v13, v11 :: v_dual_mov_b32 v14, v10
	s_mov_b32 s15, 0
	s_mov_b32 s14, s11
	s_branch .LBB8_114
.LBB8_113:                              ;   in Loop: Header=BB8_114 Depth=2
	s_or_b32 exec_lo, exec_lo, s17
	v_dual_add_nc_u32 v14, s10, v14 :: v_dual_add_nc_u32 v13, s7, v13
	s_add_co_i32 s14, s14, -1
	s_cmp_eq_u32 s16, s7
	s_mov_b32 s15, s16
	s_cbranch_scc1 .LBB8_110
.LBB8_114:                              ;   Parent Loop BB8_111 Depth=1
                                        ; =>  This Loop Header: Depth=2
                                        ;       Child Loop BB8_117 Depth 3
                                        ;         Child Loop BB8_120 Depth 4
	s_add_co_i32 s16, s15, 1
	s_and_saveexec_b32 s17, s0
	s_cbranch_execz .LBB8_113
; %bb.115:                              ;   in Loop: Header=BB8_114 Depth=2
	s_delay_alu instid0(VALU_DEP_2) | instskip(SKIP_2) | instid1(VALU_DEP_2)
	v_dual_add_nc_u32 v0, s15, v9 :: v_dual_add_nc_u32 v1, s15, v12
	v_dual_mov_b32 v17, v13 :: v_dual_mov_b32 v20, v18
	s_cmp_lt_i32 s16, s7
	v_mul_lo_u32 v15, v0, s7
	s_delay_alu instid0(VALU_DEP_3)
	v_mul_lo_u32 v16, v1, s7
	s_cselect_b32 s22, -1, 0
	s_mov_b32 s23, 0
	s_branch .LBB8_117
.LBB8_116:                              ;   in Loop: Header=BB8_117 Depth=3
	v_dual_add_nc_u32 v20, 32, v20 :: v_dual_add_nc_u32 v17, 32, v17
	s_delay_alu instid0(VALU_DEP_1)
	v_cmp_le_i32_e32 vcc_lo, s7, v20
	s_or_b32 s23, vcc_lo, s23
	s_wait_xcnt 0x0
	s_and_not1_b32 exec_lo, exec_lo, s23
	s_cbranch_execz .LBB8_113
.LBB8_117:                              ;   Parent Loop BB8_111 Depth=1
                                        ;     Parent Loop BB8_114 Depth=2
                                        ; =>    This Loop Header: Depth=3
                                        ;         Child Loop BB8_120 Depth 4
	s_and_not1_b32 vcc_lo, exec_lo, s22
	s_cbranch_vccnz .LBB8_116
; %bb.118:                              ;   in Loop: Header=BB8_117 Depth=3
	v_add_nc_u32_e32 v0, v20, v12
	s_delay_alu instid0(VALU_DEP_2) | instskip(SKIP_4) | instid1(VALU_DEP_1)
	v_add_nc_u32_e32 v23, v20, v16
	s_mov_b32 s24, 0
	s_mov_b32 s25, s14
	s_mov_b32 s26, s16
	v_mul_lo_u32 v21, v0, s7
	v_add_nc_u32_e32 v22, s15, v21
	s_branch .LBB8_120
.LBB8_119:                              ;   in Loop: Header=BB8_120 Depth=4
	s_wait_loadcnt 0x0
	v_fma_f64 v[0:1], -v[0:1], v[4:5], v[6:7]
	s_add_co_i32 s25, s25, -1
	s_add_co_i32 s26, s26, 1
	s_add_co_i32 s24, s24, s7
	s_cmp_eq_u32 s25, 0
	global_store_b64 v24, v[0:1], s[12:13] scale_offset
	s_cbranch_scc1 .LBB8_116
.LBB8_120:                              ;   Parent Loop BB8_111 Depth=1
                                        ;     Parent Loop BB8_114 Depth=2
                                        ;       Parent Loop BB8_117 Depth=3
                                        ; =>      This Inner Loop Header: Depth=4
	s_and_b32 vcc_lo, exec_lo, s9
	s_cbranch_vccz .LBB8_128
; %bb.121:                              ;   in Loop: Header=BB8_120 Depth=4
	s_wait_xcnt 0x1
	v_add_nc_u32_e32 v6, s26, v15
	v_mov_b32_e32 v7, v22
	s_cbranch_execnz .LBB8_123
.LBB8_122:                              ;   in Loop: Header=BB8_120 Depth=4
	s_wait_xcnt 0x1
	v_dual_mov_b32 v7, v23 :: v_dual_add_nc_u32 v6, s24, v14
.LBB8_123:                              ;   in Loop: Header=BB8_120 Depth=4
	s_clause 0x1
	global_load_b64 v[0:1], v6, s[12:13] scale_offset
	global_load_b64 v[4:5], v7, s[12:13] scale_offset
	v_add_nc_u32_e32 v24, s26, v21
	s_and_b32 vcc_lo, exec_lo, s9
	s_cbranch_vccz .LBB8_129
; %bb.124:                              ;   in Loop: Header=BB8_120 Depth=4
	s_wait_xcnt 0x1
	v_add_nc_u32_e32 v6, s26, v21
	v_add_nc_u32_e32 v25, s24, v17
	s_cbranch_execnz .LBB8_126
.LBB8_125:                              ;   in Loop: Header=BB8_120 Depth=4
	s_wait_xcnt 0x1
	v_add_nc_u32_e32 v6, s24, v17
.LBB8_126:                              ;   in Loop: Header=BB8_120 Depth=4
	global_load_b64 v[6:7], v6, s[12:13] scale_offset
	s_and_b32 vcc_lo, exec_lo, s9
	s_cbranch_vccz .LBB8_130
; %bb.127:                              ;   in Loop: Header=BB8_120 Depth=4
	s_cbranch_execnz .LBB8_119
	s_branch .LBB8_131
.LBB8_128:                              ;   in Loop: Header=BB8_120 Depth=4
                                        ; implicit-def: $vgpr6
	s_delay_alu instid0(VALU_DEP_1)
	v_mov_b32_e32 v7, v22
	s_branch .LBB8_122
.LBB8_129:                              ;   in Loop: Header=BB8_120 Depth=4
                                        ; implicit-def: $vgpr6
	v_add_nc_u32_e32 v25, s24, v17
	s_branch .LBB8_125
.LBB8_130:                              ;   in Loop: Header=BB8_120 Depth=4
                                        ; implicit-def: $vgpr24
.LBB8_131:                              ;   in Loop: Header=BB8_120 Depth=4
	v_mov_b32_e32 v24, v25
	s_branch .LBB8_119
.LBB8_132:
	s_or_b32 exec_lo, exec_lo, s1
	s_delay_alu instid0(SALU_CYCLE_1)
	s_or_not1_b32 s2, s2, exec_lo
.LBB8_133:
	s_or_b32 exec_lo, exec_lo, s5
	v_cmp_eq_u32_e32 vcc_lo, 0, v18
	s_and_b32 exec_lo, exec_lo, vcc_lo
	s_cbranch_execz .LBB8_139
; %bb.134:
	v_lshl_add_u64 v[0:1], v[2:3], 2, s[20:21]
	v_mov_b32_e32 v3, 1
	global_wb scope:SCOPE_DEV
	s_wait_storecnt_dscnt 0x0
	global_store_b32 v[0:1], v3, off scope:SCOPE_DEV
	s_wait_xcnt 0x0
	s_and_b32 exec_lo, exec_lo, s2
	s_cbranch_execz .LBB8_139
; %bb.135:
	v_add_nc_u32_e32 v0, s6, v2
	s_mov_b32 s1, exec_lo
	s_brev_b32 s0, -2
.LBB8_136:                              ; =>This Inner Loop Header: Depth=1
	s_ctz_i32_b32 s2, s1
	s_delay_alu instid0(VALU_DEP_1) | instid1(SALU_CYCLE_1)
	v_readlane_b32 s3, v0, s2
	s_lshl_b32 s2, 1, s2
	s_delay_alu instid0(SALU_CYCLE_1)
	s_and_not1_b32 s1, s1, s2
	s_min_i32 s0, s0, s3
	s_cmp_lg_u32 s1, 0
	s_cbranch_scc1 .LBB8_136
; %bb.137:
	v_mbcnt_lo_u32_b32 v0, exec_lo, 0
	s_mov_b32 s1, exec_lo
	s_delay_alu instid0(VALU_DEP_1)
	v_cmpx_eq_u32_e32 0, v0
	s_xor_b32 s1, exec_lo, s1
	s_cbranch_execz .LBB8_139
; %bb.138:
	v_dual_mov_b32 v0, 0 :: v_dual_mov_b32 v1, s0
	global_atomic_min_i32 v0, v1, s[18:19] scope:SCOPE_DEV
.LBB8_139:
	s_endpgm
	.section	.rodata,"a",@progbits
	.p2align	6, 0x0
	.amdhsa_kernel _ZN9rocsparseL15bsrilu0_generalILj128ELj32ELb0EdEEv20rocsparse_direction_iPKiS3_PT2_S3_iPiS3_S6_21rocsparse_index_base_imNS_24const_host_device_scalarIfEENS8_IdEENS8_IS4_EEb
		.amdhsa_group_segment_fixed_size 0
		.amdhsa_private_segment_fixed_size 0
		.amdhsa_kernarg_size 116
		.amdhsa_user_sgpr_count 2
		.amdhsa_user_sgpr_dispatch_ptr 0
		.amdhsa_user_sgpr_queue_ptr 0
		.amdhsa_user_sgpr_kernarg_segment_ptr 1
		.amdhsa_user_sgpr_dispatch_id 0
		.amdhsa_user_sgpr_kernarg_preload_length 0
		.amdhsa_user_sgpr_kernarg_preload_offset 0
		.amdhsa_user_sgpr_private_segment_size 0
		.amdhsa_wavefront_size32 1
		.amdhsa_uses_dynamic_stack 0
		.amdhsa_enable_private_segment 0
		.amdhsa_system_sgpr_workgroup_id_x 1
		.amdhsa_system_sgpr_workgroup_id_y 0
		.amdhsa_system_sgpr_workgroup_id_z 0
		.amdhsa_system_sgpr_workgroup_info 0
		.amdhsa_system_vgpr_workitem_id 0
		.amdhsa_next_free_vgpr 40
		.amdhsa_next_free_sgpr 45
		.amdhsa_named_barrier_count 0
		.amdhsa_reserve_vcc 1
		.amdhsa_float_round_mode_32 0
		.amdhsa_float_round_mode_16_64 0
		.amdhsa_float_denorm_mode_32 3
		.amdhsa_float_denorm_mode_16_64 3
		.amdhsa_fp16_overflow 0
		.amdhsa_memory_ordered 1
		.amdhsa_forward_progress 1
		.amdhsa_inst_pref_size 31
		.amdhsa_round_robin_scheduling 0
		.amdhsa_exception_fp_ieee_invalid_op 0
		.amdhsa_exception_fp_denorm_src 0
		.amdhsa_exception_fp_ieee_div_zero 0
		.amdhsa_exception_fp_ieee_overflow 0
		.amdhsa_exception_fp_ieee_underflow 0
		.amdhsa_exception_fp_ieee_inexact 0
		.amdhsa_exception_int_div_zero 0
	.end_amdhsa_kernel
	.section	.text._ZN9rocsparseL15bsrilu0_generalILj128ELj32ELb0EdEEv20rocsparse_direction_iPKiS3_PT2_S3_iPiS3_S6_21rocsparse_index_base_imNS_24const_host_device_scalarIfEENS8_IdEENS8_IS4_EEb,"axG",@progbits,_ZN9rocsparseL15bsrilu0_generalILj128ELj32ELb0EdEEv20rocsparse_direction_iPKiS3_PT2_S3_iPiS3_S6_21rocsparse_index_base_imNS_24const_host_device_scalarIfEENS8_IdEENS8_IS4_EEb,comdat
.Lfunc_end8:
	.size	_ZN9rocsparseL15bsrilu0_generalILj128ELj32ELb0EdEEv20rocsparse_direction_iPKiS3_PT2_S3_iPiS3_S6_21rocsparse_index_base_imNS_24const_host_device_scalarIfEENS8_IdEENS8_IS4_EEb, .Lfunc_end8-_ZN9rocsparseL15bsrilu0_generalILj128ELj32ELb0EdEEv20rocsparse_direction_iPKiS3_PT2_S3_iPiS3_S6_21rocsparse_index_base_imNS_24const_host_device_scalarIfEENS8_IdEENS8_IS4_EEb
                                        ; -- End function
	.set _ZN9rocsparseL15bsrilu0_generalILj128ELj32ELb0EdEEv20rocsparse_direction_iPKiS3_PT2_S3_iPiS3_S6_21rocsparse_index_base_imNS_24const_host_device_scalarIfEENS8_IdEENS8_IS4_EEb.num_vgpr, 40
	.set _ZN9rocsparseL15bsrilu0_generalILj128ELj32ELb0EdEEv20rocsparse_direction_iPKiS3_PT2_S3_iPiS3_S6_21rocsparse_index_base_imNS_24const_host_device_scalarIfEENS8_IdEENS8_IS4_EEb.num_agpr, 0
	.set _ZN9rocsparseL15bsrilu0_generalILj128ELj32ELb0EdEEv20rocsparse_direction_iPKiS3_PT2_S3_iPiS3_S6_21rocsparse_index_base_imNS_24const_host_device_scalarIfEENS8_IdEENS8_IS4_EEb.numbered_sgpr, 45
	.set _ZN9rocsparseL15bsrilu0_generalILj128ELj32ELb0EdEEv20rocsparse_direction_iPKiS3_PT2_S3_iPiS3_S6_21rocsparse_index_base_imNS_24const_host_device_scalarIfEENS8_IdEENS8_IS4_EEb.num_named_barrier, 0
	.set _ZN9rocsparseL15bsrilu0_generalILj128ELj32ELb0EdEEv20rocsparse_direction_iPKiS3_PT2_S3_iPiS3_S6_21rocsparse_index_base_imNS_24const_host_device_scalarIfEENS8_IdEENS8_IS4_EEb.private_seg_size, 0
	.set _ZN9rocsparseL15bsrilu0_generalILj128ELj32ELb0EdEEv20rocsparse_direction_iPKiS3_PT2_S3_iPiS3_S6_21rocsparse_index_base_imNS_24const_host_device_scalarIfEENS8_IdEENS8_IS4_EEb.uses_vcc, 1
	.set _ZN9rocsparseL15bsrilu0_generalILj128ELj32ELb0EdEEv20rocsparse_direction_iPKiS3_PT2_S3_iPiS3_S6_21rocsparse_index_base_imNS_24const_host_device_scalarIfEENS8_IdEENS8_IS4_EEb.uses_flat_scratch, 0
	.set _ZN9rocsparseL15bsrilu0_generalILj128ELj32ELb0EdEEv20rocsparse_direction_iPKiS3_PT2_S3_iPiS3_S6_21rocsparse_index_base_imNS_24const_host_device_scalarIfEENS8_IdEENS8_IS4_EEb.has_dyn_sized_stack, 0
	.set _ZN9rocsparseL15bsrilu0_generalILj128ELj32ELb0EdEEv20rocsparse_direction_iPKiS3_PT2_S3_iPiS3_S6_21rocsparse_index_base_imNS_24const_host_device_scalarIfEENS8_IdEENS8_IS4_EEb.has_recursion, 0
	.set _ZN9rocsparseL15bsrilu0_generalILj128ELj32ELb0EdEEv20rocsparse_direction_iPKiS3_PT2_S3_iPiS3_S6_21rocsparse_index_base_imNS_24const_host_device_scalarIfEENS8_IdEENS8_IS4_EEb.has_indirect_call, 0
	.section	.AMDGPU.csdata,"",@progbits
; Kernel info:
; codeLenInByte = 3936
; TotalNumSgprs: 47
; NumVgprs: 40
; ScratchSize: 0
; MemoryBound: 0
; FloatMode: 240
; IeeeMode: 1
; LDSByteSize: 0 bytes/workgroup (compile time only)
; SGPRBlocks: 0
; VGPRBlocks: 2
; NumSGPRsForWavesPerEU: 47
; NumVGPRsForWavesPerEU: 40
; NamedBarCnt: 0
; Occupancy: 16
; WaveLimiterHint : 1
; COMPUTE_PGM_RSRC2:SCRATCH_EN: 0
; COMPUTE_PGM_RSRC2:USER_SGPR: 2
; COMPUTE_PGM_RSRC2:TRAP_HANDLER: 0
; COMPUTE_PGM_RSRC2:TGID_X_EN: 1
; COMPUTE_PGM_RSRC2:TGID_Y_EN: 0
; COMPUTE_PGM_RSRC2:TGID_Z_EN: 0
; COMPUTE_PGM_RSRC2:TIDIG_COMP_CNT: 0
	.section	.text._ZN9rocsparseL11bsrilu0_2_8ILj64ELj64ELj8EdEEv20rocsparse_direction_iPKiS3_PT2_S3_iPiS3_S6_21rocsparse_index_base_imNS_24const_host_device_scalarIfEENS8_IdEENS8_IS4_EEb,"axG",@progbits,_ZN9rocsparseL11bsrilu0_2_8ILj64ELj64ELj8EdEEv20rocsparse_direction_iPKiS3_PT2_S3_iPiS3_S6_21rocsparse_index_base_imNS_24const_host_device_scalarIfEENS8_IdEENS8_IS4_EEb,comdat
	.globl	_ZN9rocsparseL11bsrilu0_2_8ILj64ELj64ELj8EdEEv20rocsparse_direction_iPKiS3_PT2_S3_iPiS3_S6_21rocsparse_index_base_imNS_24const_host_device_scalarIfEENS8_IdEENS8_IS4_EEb ; -- Begin function _ZN9rocsparseL11bsrilu0_2_8ILj64ELj64ELj8EdEEv20rocsparse_direction_iPKiS3_PT2_S3_iPiS3_S6_21rocsparse_index_base_imNS_24const_host_device_scalarIfEENS8_IdEENS8_IS4_EEb
	.p2align	8
	.type	_ZN9rocsparseL11bsrilu0_2_8ILj64ELj64ELj8EdEEv20rocsparse_direction_iPKiS3_PT2_S3_iPiS3_S6_21rocsparse_index_base_imNS_24const_host_device_scalarIfEENS8_IdEENS8_IS4_EEb,@function
_ZN9rocsparseL11bsrilu0_2_8ILj64ELj64ELj8EdEEv20rocsparse_direction_iPKiS3_PT2_S3_iPiS3_S6_21rocsparse_index_base_imNS_24const_host_device_scalarIfEENS8_IdEENS8_IS4_EEb: ; @_ZN9rocsparseL11bsrilu0_2_8ILj64ELj64ELj8EdEEv20rocsparse_direction_iPKiS3_PT2_S3_iPiS3_S6_21rocsparse_index_base_imNS_24const_host_device_scalarIfEENS8_IdEENS8_IS4_EEb
; %bb.0:
	s_clause 0x2
	s_load_b32 s2, s[0:1], 0x70
	s_load_b64 s[20:21], s[0:1], 0x48
	s_load_b256 s[12:19], s[0:1], 0x50
	s_wait_kmcnt 0x0
	s_bitcmp1_b32 s2, 0
	s_cselect_b32 s2, -1, 0
	s_cmp_eq_u32 s21, 0
	s_cselect_b32 s4, -1, 0
	s_cmp_lg_u32 s21, 0
	s_cselect_b32 s31, -1, 0
	s_or_b32 s6, s4, s2
	s_delay_alu instid0(SALU_CYCLE_1)
	s_xor_b32 s5, s6, -1
	s_and_b32 s2, s4, exec_lo
	s_cselect_b32 s3, 0, s17
	s_cselect_b32 s2, 0, s16
	;; [unrolled: 1-line block ×3, first 2 shown]
	s_and_b32 vcc_lo, exec_lo, s6
	s_cbranch_vccnz .LBB9_2
; %bb.1:
	s_load_b32 s34, s[14:15], 0x0
	s_mov_b64 s[2:3], s[16:17]
.LBB9_2:
	s_delay_alu instid0(SALU_CYCLE_1)
	v_mov_b64_e32 v[4:5], s[2:3]
	v_cndmask_b32_e64 v1, 0, 1, s5
	s_and_not1_b32 vcc_lo, exec_lo, s5
	s_cbranch_vccnz .LBB9_4
; %bb.3:
	v_mov_b32_e32 v2, 0
	flat_load_b64 v[4:5], v2, s[16:17]
.LBB9_4:
	s_and_b32 s2, s4, exec_lo
	s_cselect_b32 s3, 0, s19
	s_cselect_b32 s2, 0, s18
	v_cmp_ne_u32_e32 vcc_lo, 1, v1
	s_wait_xcnt 0x0
	v_mov_b64_e32 v[2:3], s[2:3]
	s_cbranch_vccnz .LBB9_6
; %bb.5:
	v_mov_b32_e32 v1, 0
	flat_load_b64 v[2:3], v1, s[18:19]
.LBB9_6:
	s_wait_xcnt 0x0
	s_load_b128 s[16:19], s[0:1], 0x30
	s_bfe_u32 s2, ttmp6, 0x4000c
	s_and_b32 s3, ttmp6, 15
	s_add_co_i32 s2, s2, 1
	s_getreg_b32 s4, hwreg(HW_REG_IB_STS2, 6, 4)
	s_mul_i32 s2, ttmp9, s2
	s_delay_alu instid0(SALU_CYCLE_1)
	s_add_co_i32 s3, s3, s2
	s_cmp_eq_u32 s4, 0
	s_cselect_b32 s2, ttmp9, s3
	s_load_b64 s[14:15], s[0:1], 0x40
	s_wait_kmcnt 0x0
	s_load_b32 s22, s[18:19], s2 offset:0x0 scale_offset
	s_load_b256 s[4:11], s[0:1], 0x8
	s_wait_kmcnt 0x0
	s_ashr_i32 s23, s22, 31
	s_delay_alu instid0(SALU_CYCLE_1) | instskip(NEXT) | instid1(SALU_CYCLE_1)
	s_lshl_b64 s[18:19], s[22:23], 2
	s_add_nc_u64 s[2:3], s[10:11], s[18:19]
	s_load_b32 s33, s[2:3], 0x0
	s_wait_kmcnt 0x0
	s_cmp_eq_u32 s33, -1
	s_cbranch_scc1 .LBB9_80
; %bb.7:
	s_add_nc_u64 s[2:3], s[4:5], s[18:19]
	v_bfe_u32 v1, v0, 10, 10
	s_load_b64 s[26:27], s[2:3], 0x0
	s_clause 0x1
	s_load_b64 s[24:25], s[0:1], 0x0
	s_load_b32 s21, s[0:1], 0x28
	v_and_b32_e32 v15, 0x3ff, v0
	s_mov_b32 s30, 0
	v_mul_u32_u24_e32 v16, 0x48, v1
	v_add_nc_u32_e32 v14, 1, v1
	s_wait_kmcnt 0x0
	s_sub_co_i32 s35, s26, s20
	s_sub_co_i32 s23, s27, s20
	s_cmp_ge_i32 s35, s33
	s_cbranch_scc1 .LBB9_58
; %bb.8:
	v_dual_lshlrev_b32 v6, 3, v15 :: v_dual_add_nc_u32 v20, s35, v15
	s_cmp_eq_u32 s24, 0
	v_max_u32_e32 v7, v15, v1
	s_cselect_b32 vcc_lo, -1, 0
	s_cmp_gt_i32 s21, 0
	v_dual_cndmask_b32 v22, v15, v1 :: v_dual_add_nc_u32 v17, 0x240, v6
	v_mad_u32_u24 v18, 0x48, v1, v6
	s_cselect_b32 s36, -1, 0
	s_add_co_i32 s25, s25, 1
	s_cmp_lg_u32 s21, 1
	v_cmp_eq_u32_e64 s2, 0, v1
	v_cmp_gt_u32_e64 s3, s21, v7
	v_mad_u32_u24 v19, 0x48, v1, v17
	v_dual_cndmask_b32 v21, v1, v15, vcc_lo :: v_dual_add_nc_u32 v23, 1, v1
	s_cselect_b32 s37, -1, 0
	s_and_b32 s38, s21, 0x7ffffffe
	v_mad_u32_u24 v24, 0x48, v1, 0x48
	v_dual_mov_b32 v26, 0 :: v_dual_add_nc_u32 v25, 0x288, v18
	s_bitcmp1_b32 s21, 0
	s_add_nc_u64 s[26:27], s[0:1], 0x78
	s_cselect_b32 s39, -1, 0
	s_branch .LBB9_11
.LBB9_9:                                ;   in Loop: Header=BB9_11 Depth=1
	s_mov_b32 s30, -1
.LBB9_10:                               ;   in Loop: Header=BB9_11 Depth=1
	s_add_co_i32 s35, s35, 1
	s_delay_alu instid0(SALU_CYCLE_1) | instskip(SKIP_1) | instid1(SALU_CYCLE_1)
	s_cmp_lt_i32 s35, s33
	s_cselect_b32 s1, -1, 0
	s_and_b32 s0, s0, s1
	s_delay_alu instid0(SALU_CYCLE_1)
	s_and_b32 vcc_lo, exec_lo, s0
	s_cbranch_vccz .LBB9_58
.LBB9_11:                               ; =>This Loop Header: Depth=1
                                        ;     Child Loop BB9_15 Depth 2
                                        ;     Child Loop BB9_22 Depth 2
	;; [unrolled: 1-line block ×3, first 2 shown]
                                        ;       Child Loop BB9_47 Depth 3
                                        ;       Child Loop BB9_55 Depth 3
	v_mov_b32_e32 v6, s35
	global_load_b32 v8, v6, s[6:7] scale_offset
	s_wait_xcnt 0x0
	v_mov_b64_e32 v[6:7], 0
	s_wait_loadcnt 0x0
	v_readfirstlane_b32 s0, v8
	s_and_saveexec_b32 s1, s3
	s_cbranch_execz .LBB9_13
; %bb.12:                               ;   in Loop: Header=BB9_11 Depth=1
	v_mad_u32 v6, s35, s21, v21
	s_delay_alu instid0(VALU_DEP_1)
	v_mad_u32 v6, v6, s21, v22
	global_load_b64 v[6:7], v6, s[8:9] scale_offset
.LBB9_13:                               ;   in Loop: Header=BB9_11 Depth=1
	s_wait_xcnt 0x0
	s_or_b32 exec_lo, exec_lo, s1
	s_sub_co_i32 s28, s0, s20
	s_wait_loadcnt 0x0
	ds_store_b64 v19, v[6:7]
	v_mov_b32_e32 v8, s28
	global_load_b32 v8, v8, s[10:11] scale_offset
	s_wait_loadcnt 0x0
	v_cmp_eq_u32_e32 vcc_lo, -1, v8
	v_readfirstlane_b32 s1, v8
	v_cmp_ne_u32_e64 s0, -1, v8
	s_cbranch_vccnz .LBB9_9
; %bb.14:                               ;   in Loop: Header=BB9_11 Depth=1
	s_ashr_i32 s29, s28, 31
	s_delay_alu instid0(SALU_CYCLE_1) | instskip(NEXT) | instid1(SALU_CYCLE_1)
	s_lshl_b64 s[28:29], s[28:29], 2
	s_add_nc_u64 s[40:41], s[4:5], s[28:29]
	s_add_nc_u64 s[28:29], s[16:17], s[28:29]
	global_load_b32 v6, v26, s[40:41] offset:4
	s_wait_loadcnt 0x0
	s_wait_xcnt 0x0
	v_readfirstlane_b32 s40, v6
.LBB9_15:                               ;   Parent Loop BB9_11 Depth=1
                                        ; =>  This Inner Loop Header: Depth=2
	global_load_b32 v6, v26, s[28:29] scope:SCOPE_DEV
	s_wait_loadcnt 0x0
	v_cmp_eq_u32_e32 vcc_lo, 0, v6
	s_cbranch_vccnz .LBB9_15
; %bb.16:                               ;   in Loop: Header=BB9_11 Depth=1
	v_mov_b64_e32 v[6:7], 0
	s_wait_dscnt 0x0
	global_inv scope:SCOPE_DEV
	s_wait_xcnt 0x0
	s_and_saveexec_b32 s28, s3
	s_cbranch_execz .LBB9_18
; %bb.17:                               ;   in Loop: Header=BB9_11 Depth=1
	v_mad_u32 v6, s1, s21, v21
	s_delay_alu instid0(VALU_DEP_1)
	v_mad_u32 v6, v6, s21, v22
	global_load_b64 v[6:7], v6, s[8:9] scale_offset
.LBB9_18:                               ;   in Loop: Header=BB9_11 Depth=1
	s_wait_xcnt 0x0
	s_or_b32 exec_lo, exec_lo, s28
	s_delay_alu instid0(SALU_CYCLE_1)
	s_and_not1_b32 vcc_lo, exec_lo, s36
	s_wait_loadcnt 0x0
	ds_store_b64 v18, v[6:7]
	s_wait_dscnt 0x0
	s_cbranch_vccnz .LBB9_36
; %bb.19:                               ;   in Loop: Header=BB9_11 Depth=1
	s_and_not1_b32 vcc_lo, exec_lo, s37
	s_mov_b32 s41, 0
	s_cbranch_vccnz .LBB9_30
; %bb.20:                               ;   in Loop: Header=BB9_11 Depth=1
	v_dual_mov_b32 v8, v17 :: v_dual_mov_b32 v9, v25
	v_mov_b32_e32 v10, v24
	s_mov_b32 s28, 0
	s_mov_b32 s29, 0
	s_branch .LBB9_22
.LBB9_21:                               ;   in Loop: Header=BB9_22 Depth=2
	s_or_b32 exec_lo, exec_lo, s41
	v_add_nc_u32_e32 v10, 0xa0, v10
	v_add_nc_u32_e32 v9, 0x90, v9
	;; [unrolled: 1-line block ×3, first 2 shown]
	s_add_co_i32 s29, s29, 2
	s_addk_co_i32 s28, 0xa0
	s_cmp_eq_u32 s38, s29
	s_mov_b32 s41, s38
	s_wait_dscnt 0x0
	s_cbranch_scc1 .LBB9_30
.LBB9_22:                               ;   Parent Loop BB9_11 Depth=1
                                        ; =>  This Inner Loop Header: Depth=2
	v_mov_b32_e32 v6, s28
	ds_load_b64 v[6:7], v6
	ds_load_b64 v[12:13], v8
	s_wait_dscnt 0x0
	v_div_scale_f64 v[28:29], null, v[6:7], v[6:7], v[12:13]
	s_delay_alu instid0(VALU_DEP_1) | instskip(SKIP_1) | instid1(TRANS32_DEP_1)
	v_rcp_f64_e32 v[30:31], v[28:29]
	v_nop
	v_fma_f64 v[32:33], -v[28:29], v[30:31], 1.0
	s_delay_alu instid0(VALU_DEP_1) | instskip(NEXT) | instid1(VALU_DEP_1)
	v_fmac_f64_e32 v[30:31], v[30:31], v[32:33]
	v_fma_f64 v[32:33], -v[28:29], v[30:31], 1.0
	s_delay_alu instid0(VALU_DEP_1) | instskip(SKIP_1) | instid1(VALU_DEP_1)
	v_fmac_f64_e32 v[30:31], v[30:31], v[32:33]
	v_div_scale_f64 v[32:33], vcc_lo, v[12:13], v[6:7], v[12:13]
	v_mul_f64_e32 v[34:35], v[32:33], v[30:31]
	s_delay_alu instid0(VALU_DEP_1) | instskip(NEXT) | instid1(VALU_DEP_1)
	v_fma_f64 v[28:29], -v[28:29], v[34:35], v[32:33]
	v_div_fmas_f64 v[28:29], v[28:29], v[30:31], v[34:35]
	s_delay_alu instid0(VALU_DEP_1)
	v_div_fixup_f64 v[6:7], v[28:29], v[6:7], v[12:13]
	s_and_saveexec_b32 s41, s2
; %bb.23:                               ;   in Loop: Header=BB9_22 Depth=2
	ds_store_b64 v8, v[6:7]
; %bb.24:                               ;   in Loop: Header=BB9_22 Depth=2
	s_or_b32 exec_lo, exec_lo, s41
	v_add_nc_u32_e32 v11, s29, v1
	s_mov_b32 s41, exec_lo
	s_delay_alu instid0(VALU_DEP_1) | instskip(NEXT) | instid1(VALU_DEP_1)
	v_add_nc_u32_e32 v12, 1, v11
	v_cmpx_gt_i32_e64 s21, v12
	s_cbranch_execz .LBB9_26
; %bb.25:                               ;   in Loop: Header=BB9_22 Depth=2
	ds_load_b64 v[12:13], v10
	ds_load_b64 v[28:29], v9
	s_wait_dscnt 0x0
	v_fma_f64 v[6:7], -v[6:7], v[12:13], v[28:29]
	ds_store_b64 v9, v[6:7]
.LBB9_26:                               ;   in Loop: Header=BB9_22 Depth=2
	s_or_b32 exec_lo, exec_lo, s41
	v_mov_b32_e32 v6, s28
	s_wait_dscnt 0x0
	ds_load_b64 v[6:7], v6 offset:80
	ds_load_b64 v[12:13], v8 offset:72
	s_wait_dscnt 0x0
	v_div_scale_f64 v[28:29], null, v[6:7], v[6:7], v[12:13]
	s_delay_alu instid0(VALU_DEP_1) | instskip(SKIP_1) | instid1(TRANS32_DEP_1)
	v_rcp_f64_e32 v[30:31], v[28:29]
	v_nop
	v_fma_f64 v[32:33], -v[28:29], v[30:31], 1.0
	s_delay_alu instid0(VALU_DEP_1) | instskip(NEXT) | instid1(VALU_DEP_1)
	v_fmac_f64_e32 v[30:31], v[30:31], v[32:33]
	v_fma_f64 v[32:33], -v[28:29], v[30:31], 1.0
	s_delay_alu instid0(VALU_DEP_1) | instskip(SKIP_1) | instid1(VALU_DEP_1)
	v_fmac_f64_e32 v[30:31], v[30:31], v[32:33]
	v_div_scale_f64 v[32:33], vcc_lo, v[12:13], v[6:7], v[12:13]
	v_mul_f64_e32 v[34:35], v[32:33], v[30:31]
	s_delay_alu instid0(VALU_DEP_1) | instskip(NEXT) | instid1(VALU_DEP_1)
	v_fma_f64 v[28:29], -v[28:29], v[34:35], v[32:33]
	v_div_fmas_f64 v[28:29], v[28:29], v[30:31], v[34:35]
	s_delay_alu instid0(VALU_DEP_1)
	v_div_fixup_f64 v[6:7], v[28:29], v[6:7], v[12:13]
	s_and_saveexec_b32 s41, s2
; %bb.27:                               ;   in Loop: Header=BB9_22 Depth=2
	ds_store_b64 v8, v[6:7] offset:72
; %bb.28:                               ;   in Loop: Header=BB9_22 Depth=2
	s_or_b32 exec_lo, exec_lo, s41
	v_add_nc_u32_e32 v11, 2, v11
	s_mov_b32 s41, exec_lo
	s_delay_alu instid0(VALU_DEP_1)
	v_cmpx_gt_i32_e64 s21, v11
	s_cbranch_execz .LBB9_21
; %bb.29:                               ;   in Loop: Header=BB9_22 Depth=2
	ds_load_b64 v[12:13], v10 offset:80
	ds_load_b64 v[28:29], v9 offset:72
	s_wait_dscnt 0x0
	v_fma_f64 v[6:7], -v[6:7], v[12:13], v[28:29]
	ds_store_b64 v9, v[6:7] offset:72
	s_branch .LBB9_21
.LBB9_30:                               ;   in Loop: Header=BB9_11 Depth=1
	s_and_not1_b32 vcc_lo, exec_lo, s39
	s_cbranch_vccnz .LBB9_36
; %bb.31:                               ;   in Loop: Header=BB9_11 Depth=1
	s_mul_i32 s28, s41, 0x48
	s_lshl_b32 s29, s41, 3
	v_add_nc_u32_e32 v8, s28, v17
	s_add_co_i32 s42, s28, s29
	s_delay_alu instid0(SALU_CYCLE_1) | instskip(SKIP_4) | instid1(VALU_DEP_1)
	v_mov_b32_e32 v6, s42
	ds_load_b64 v[6:7], v6
	ds_load_b64 v[10:11], v8
	s_wait_dscnt 0x0
	v_div_scale_f64 v[12:13], null, v[6:7], v[6:7], v[10:11]
	v_rcp_f64_e32 v[28:29], v[12:13]
	v_nop
	s_delay_alu instid0(TRANS32_DEP_1) | instskip(NEXT) | instid1(VALU_DEP_1)
	v_fma_f64 v[30:31], -v[12:13], v[28:29], 1.0
	v_fmac_f64_e32 v[28:29], v[28:29], v[30:31]
	s_delay_alu instid0(VALU_DEP_1) | instskip(NEXT) | instid1(VALU_DEP_1)
	v_fma_f64 v[30:31], -v[12:13], v[28:29], 1.0
	v_fmac_f64_e32 v[28:29], v[28:29], v[30:31]
	v_div_scale_f64 v[30:31], vcc_lo, v[10:11], v[6:7], v[10:11]
	s_delay_alu instid0(VALU_DEP_1) | instskip(NEXT) | instid1(VALU_DEP_1)
	v_mul_f64_e32 v[32:33], v[30:31], v[28:29]
	v_fma_f64 v[12:13], -v[12:13], v[32:33], v[30:31]
	s_delay_alu instid0(VALU_DEP_1) | instskip(NEXT) | instid1(VALU_DEP_1)
	v_div_fmas_f64 v[12:13], v[12:13], v[28:29], v[32:33]
	v_div_fixup_f64 v[6:7], v[12:13], v[6:7], v[10:11]
	s_and_saveexec_b32 s42, s2
; %bb.32:                               ;   in Loop: Header=BB9_11 Depth=1
	ds_store_b64 v8, v[6:7]
; %bb.33:                               ;   in Loop: Header=BB9_11 Depth=1
	s_or_b32 exec_lo, exec_lo, s42
	v_add_nc_u32_e32 v9, s41, v23
	s_mov_b32 s41, exec_lo
	s_delay_alu instid0(VALU_DEP_1)
	v_cmpx_gt_i32_e64 s21, v9
	s_cbranch_execz .LBB9_35
; %bb.34:                               ;   in Loop: Header=BB9_11 Depth=1
	v_add3_u32 v9, s29, s28, v16
	v_mad_u32_u24 v12, 0x48, v1, v8
	ds_load_b64 v[8:9], v9 offset:72
	ds_load_b64 v[10:11], v12 offset:72
	s_wait_dscnt 0x0
	v_fma_f64 v[6:7], -v[6:7], v[8:9], v[10:11]
	ds_store_b64 v12, v[6:7] offset:72
.LBB9_35:                               ;   in Loop: Header=BB9_11 Depth=1
	s_or_b32 exec_lo, exec_lo, s41
	s_wait_dscnt 0x0
.LBB9_36:                               ;   in Loop: Header=BB9_11 Depth=1
	s_and_saveexec_b32 s28, s3
	s_cbranch_execz .LBB9_38
; %bb.37:                               ;   in Loop: Header=BB9_11 Depth=1
	v_mad_u32 v8, s35, s21, v21
	ds_load_b64 v[6:7], v19
	v_mad_u32 v8, v8, s21, v22
	s_wait_dscnt 0x0
	global_store_b64 v8, v[6:7], s[8:9] scale_offset
.LBB9_38:                               ;   in Loop: Header=BB9_11 Depth=1
	s_wait_xcnt 0x0
	s_or_b32 exec_lo, exec_lo, s28
	s_sub_co_i32 s28, s40, s20
	s_add_co_i32 s29, s1, 1
	s_delay_alu instid0(SALU_CYCLE_1)
	s_cmp_ge_i32 s29, s28
	s_cbranch_scc1 .LBB9_10
; %bb.39:                               ;   in Loop: Header=BB9_11 Depth=1
	s_load_b32 s1, s[26:27], 0xc
	s_wait_kmcnt 0x0
	s_and_b32 s1, s1, 0xffff
	s_delay_alu instid0(SALU_CYCLE_1) | instskip(NEXT) | instid1(VALU_DEP_1)
	v_mad_u32_u24 v6, v1, s1, v20
	v_ashrrev_i32_e32 v7, 31, v6
	v_cmp_gt_i32_e64 s1, s23, v6
	s_delay_alu instid0(VALU_DEP_2)
	v_lshl_add_u64 v[8:9], v[6:7], 2, s[6:7]
	s_branch .LBB9_42
.LBB9_40:                               ;   in Loop: Header=BB9_42 Depth=2
	s_wait_xcnt 0x0
	s_or_b32 exec_lo, exec_lo, s40
.LBB9_41:                               ;   in Loop: Header=BB9_42 Depth=2
	s_add_co_i32 s29, s29, 1
	s_wait_storecnt 0x0
	s_cmp_lt_i32 s29, s28
	s_cbranch_scc0 .LBB9_10
.LBB9_42:                               ;   Parent Loop BB9_11 Depth=1
                                        ; =>  This Loop Header: Depth=2
                                        ;       Child Loop BB9_47 Depth 3
                                        ;       Child Loop BB9_55 Depth 3
	v_dual_mov_b32 v7, s29 :: v_dual_mov_b32 v10, s25
	global_load_b32 v7, v7, s[6:7] scale_offset
	s_wait_xcnt 0x0
	s_and_saveexec_b32 s40, s1
	s_cbranch_execz .LBB9_44
; %bb.43:                               ;   in Loop: Header=BB9_42 Depth=2
	global_load_b32 v10, v[8:9], off
	s_wait_loadcnt 0x0
	v_subrev_nc_u32_e32 v10, s20, v10
.LBB9_44:                               ;   in Loop: Header=BB9_42 Depth=2
	s_wait_xcnt 0x0
	s_or_b32 exec_lo, exec_lo, s40
	s_wait_loadcnt 0x0
	v_subrev_nc_u32_e32 v7, s20, v7
	v_mov_b32_e32 v11, v6
	s_mov_b32 s40, exec_lo
	s_delay_alu instid0(VALU_DEP_2)
	v_cmpx_lt_i32_e64 v10, v7
	s_cbranch_execz .LBB9_50
; %bb.45:                               ;   in Loop: Header=BB9_42 Depth=2
	v_mov_b32_e32 v12, v6
	s_mov_b32 s41, 0
	s_branch .LBB9_47
.LBB9_46:                               ;   in Loop: Header=BB9_47 Depth=3
	s_wait_xcnt 0x0
	s_or_b32 exec_lo, exec_lo, s42
	s_delay_alu instid0(VALU_DEP_1) | instskip(SKIP_2) | instid1(SALU_CYCLE_1)
	v_cmp_ge_i32_e32 vcc_lo, v10, v7
	v_mov_b32_e32 v12, v11
	s_or_b32 s41, vcc_lo, s41
	s_and_not1_b32 exec_lo, exec_lo, s41
	s_cbranch_execz .LBB9_49
.LBB9_47:                               ;   Parent Loop BB9_11 Depth=1
                                        ;     Parent Loop BB9_42 Depth=2
                                        ; =>    This Inner Loop Header: Depth=3
	s_delay_alu instid0(VALU_DEP_1) | instskip(SKIP_1) | instid1(VALU_DEP_1)
	v_dual_mov_b32 v10, s25 :: v_dual_add_nc_u32 v11, 64, v12
	s_mov_b32 s42, exec_lo
	v_cmpx_gt_i32_e64 s23, v11
	s_cbranch_execz .LBB9_46
; %bb.48:                               ;   in Loop: Header=BB9_47 Depth=3
	global_load_b32 v10, v12, s[6:7] offset:256 scale_offset
	s_wait_loadcnt 0x0
	v_subrev_nc_u32_e32 v10, s20, v10
	s_branch .LBB9_46
.LBB9_49:                               ;   in Loop: Header=BB9_42 Depth=2
	s_or_b32 exec_lo, exec_lo, s41
.LBB9_50:                               ;   in Loop: Header=BB9_42 Depth=2
	s_delay_alu instid0(SALU_CYCLE_1)
	s_or_b32 exec_lo, exec_lo, s40
	v_cmp_eq_u32_e32 vcc_lo, v10, v7
	s_cbranch_vccz .LBB9_41
; %bb.51:                               ;   in Loop: Header=BB9_42 Depth=2
	s_ctz_i32_b32 s40, vcc_lo
	v_mov_b64_e32 v[12:13], 0
	s_lshl_b32 s40, s40, 2
	s_delay_alu instid0(SALU_CYCLE_1)
	v_mov_b32_e32 v7, s40
	ds_bpermute_b32 v7, v7, v11
	v_mov_b64_e32 v[10:11], 0
	s_and_saveexec_b32 s40, s3
	s_cbranch_execz .LBB9_53
; %bb.52:                               ;   in Loop: Header=BB9_42 Depth=2
	v_mad_u32 v12, s29, s21, v21
	s_delay_alu instid0(VALU_DEP_1)
	v_mad_u32 v12, v12, s21, v22
	global_load_b64 v[12:13], v12, s[8:9] scale_offset
.LBB9_53:                               ;   in Loop: Header=BB9_42 Depth=2
	s_wait_xcnt 0x0
	s_or_b32 exec_lo, exec_lo, s40
	s_delay_alu instid0(SALU_CYCLE_1)
	s_and_not1_b32 vcc_lo, exec_lo, s36
	s_wait_loadcnt 0x0
	ds_store_b64 v18, v[12:13]
	s_wait_storecnt_dscnt 0x0
	s_cbranch_vccnz .LBB9_56
; %bb.54:                               ;   in Loop: Header=BB9_42 Depth=2
	v_mov_b64_e32 v[10:11], 0
	v_dual_mov_b32 v12, v17 :: v_dual_mov_b32 v13, v16
	s_mov_b32 s40, s21
.LBB9_55:                               ;   Parent Loop BB9_11 Depth=1
                                        ;     Parent Loop BB9_42 Depth=2
                                        ; =>    This Inner Loop Header: Depth=3
	ds_load_b64 v[28:29], v12
	ds_load_b64 v[30:31], v13
	v_add_nc_u32_e32 v13, 8, v13
	v_add_nc_u32_e32 v12, 0x48, v12
	s_add_co_i32 s40, s40, -1
	s_delay_alu instid0(SALU_CYCLE_1)
	s_cmp_eq_u32 s40, 0
	s_wait_dscnt 0x0
	v_fmac_f64_e32 v[10:11], v[28:29], v[30:31]
	s_cbranch_scc0 .LBB9_55
.LBB9_56:                               ;   in Loop: Header=BB9_42 Depth=2
	s_and_saveexec_b32 s40, s3
	s_cbranch_execz .LBB9_40
; %bb.57:                               ;   in Loop: Header=BB9_42 Depth=2
	v_mad_u32 v7, v7, s21, v21
	s_delay_alu instid0(VALU_DEP_1)
	v_mad_u32 v7, v7, s21, v22
	global_load_b64 v[12:13], v7, s[8:9] scale_offset
	s_wait_loadcnt 0x0
	v_add_f64_e64 v[10:11], v[12:13], -v[10:11]
	global_store_b64 v7, v[10:11], s[8:9] scale_offset
	s_branch .LBB9_40
.LBB9_58:
	v_mov_b32_e32 v6, s33
	global_load_b32 v6, v6, s[6:7] scale_offset
	s_wait_loadcnt 0x0
	s_wait_xcnt 0x0
	v_subrev_nc_u32_e32 v6, s20, v6
	s_delay_alu instid0(VALU_DEP_1)
	v_cmp_ne_u32_e32 vcc_lo, s22, v6
	s_cbranch_vccnz .LBB9_84
; %bb.59:
	v_max_u32_e32 v8, v15, v1
	v_mov_b64_e32 v[6:7], 0
	s_delay_alu instid0(VALU_DEP_2)
	v_cmp_gt_u32_e64 s0, s21, v8
	s_and_saveexec_b32 s1, s0
	s_cbranch_execz .LBB9_61
; %bb.60:
	s_cmp_eq_u32 s24, 0
	s_cselect_b32 vcc_lo, -1, 0
	v_dual_cndmask_b32 v6, v1, v15 :: v_dual_cndmask_b32 v7, v15, v1
	s_delay_alu instid0(VALU_DEP_1) | instskip(NEXT) | instid1(VALU_DEP_1)
	v_mad_u32 v6, s33, s21, v6
	v_mad_u32 v6, v6, s21, v7
	global_load_b64 v[6:7], v6, s[8:9] scale_offset
.LBB9_61:
	s_wait_xcnt 0x0
	s_or_b32 exec_lo, exec_lo, s1
	v_lshlrev_b32_e32 v8, 3, v15
	s_cmp_lt_i32 s21, 1
	s_delay_alu instid0(VALU_DEP_1)
	v_mad_u32_u24 v10, 0x48, v1, v8
	s_wait_loadcnt 0x0
	ds_store_b64 v10, v[6:7]
	s_wait_storecnt_dscnt 0x0
	s_cbranch_scc1 .LBB9_81
; %bb.62:
	v_cvt_f64_f32_e32 v[6:7], s34
	v_dual_add_nc_u32 v13, 1, v15 :: v_dual_bitop2_b32 v9, v15, v1 bitop3:0x54
	s_cmp_eq_u64 s[12:13], 8
	v_cmp_eq_u32_e64 s1, 0, v1
	s_cselect_b32 vcc_lo, -1, 0
	v_add3_u32 v11, v16, v8, 0x50
	v_mad_u32_u24 v12, 0x48, v1, 0x48
	v_add_nc_u32_e32 v17, 8, v8
	v_cmp_eq_u32_e64 s2, 0, v9
	v_mov_b32_e32 v18, v14
	s_mov_b32 s3, 0
	s_mov_b32 s4, s21
	;; [unrolled: 1-line block ×3, first 2 shown]
	v_dual_cndmask_b32 v5, v7, v5 :: v_dual_cndmask_b32 v4, v6, v4
.LBB9_63:                               ; =>This Inner Loop Header: Depth=1
	v_mov_b32_e32 v6, s3
	s_and_not1_b32 vcc_lo, exec_lo, s31
	s_mov_b32 s6, 0
	s_mov_b32 s7, -1
	s_wait_dscnt 0x0
	ds_load_b64 v[8:9], v6
                                        ; implicit-def: $vgpr6_vgpr7
	s_cbranch_vccz .LBB9_70
; %bb.64:                               ;   in Loop: Header=BB9_63 Depth=1
	s_and_not1_b32 vcc_lo, exec_lo, s7
	s_mov_b32 s7, 0
	s_cbranch_vccz .LBB9_73
.LBB9_65:                               ;   in Loop: Header=BB9_63 Depth=1
	s_and_not1_b32 vcc_lo, exec_lo, s6
                                        ; implicit-def: $sgpr6
	s_cbranch_vccz .LBB9_74
.LBB9_66:                               ;   in Loop: Header=BB9_63 Depth=1
	s_and_not1_b32 vcc_lo, exec_lo, s7
	s_cbranch_vccnz .LBB9_68
.LBB9_67:                               ;   in Loop: Header=BB9_63 Depth=1
	s_add_co_i32 s6, s5, 1
	s_mov_b32 s30, -1
.LBB9_68:                               ;   in Loop: Header=BB9_63 Depth=1
	v_add_nc_u32_e32 v11, 0x50, v11
	v_add_nc_u32_e32 v12, 0x50, v12
	v_dual_add_nc_u32 v18, 1, v18 :: v_dual_add_nc_u32 v13, 1, v13
	v_add_nc_u32_e32 v17, 0x50, v17
	s_add_co_i32 s4, s4, -1
	s_addk_co_i32 s3, 0x50
	s_cmp_eq_u32 s4, 0
	s_cbranch_scc1 .LBB9_81
; %bb.69:                               ;   in Loop: Header=BB9_63 Depth=1
	s_mov_b32 s5, s6
	s_branch .LBB9_63
.LBB9_70:                               ;   in Loop: Header=BB9_63 Depth=1
	s_wait_dscnt 0x0
	v_cmp_ge_f64_e64 vcc_lo, v[4:5], |v[8:9]|
	v_dual_cndmask_b32 v7, v9, v3 :: v_dual_cndmask_b32 v6, v8, v2
	s_and_saveexec_b32 s6, s2
; %bb.71:                               ;   in Loop: Header=BB9_63 Depth=1
	v_mov_b32_e32 v19, s3
	ds_store_b64 v19, v[6:7]
; %bb.72:                               ;   in Loop: Header=BB9_63 Depth=1
	s_or_b32 exec_lo, exec_lo, s6
	s_mov_b32 s6, -1
	s_mov_b32 s7, 0
	s_cbranch_execnz .LBB9_65
.LBB9_73:                               ;   in Loop: Header=BB9_63 Depth=1
	s_wait_dscnt 0x0
	v_cmp_neq_f64_e64 s6, 0, v[8:9]
	v_mov_b64_e32 v[6:7], v[8:9]
	s_mov_b32 s7, -1
	s_and_not1_b32 vcc_lo, exec_lo, s6
                                        ; implicit-def: $sgpr6
	s_cbranch_vccnz .LBB9_66
.LBB9_74:                               ;   in Loop: Header=BB9_63 Depth=1
	s_mov_b32 s6, exec_lo
	v_cmpx_gt_i32_e64 s21, v13
	s_cbranch_execz .LBB9_79
; %bb.75:                               ;   in Loop: Header=BB9_63 Depth=1
	s_wait_dscnt 0x0
	ds_load_b64 v[8:9], v17
	s_wait_dscnt 0x0
	v_div_scale_f64 v[20:21], null, v[6:7], v[6:7], v[8:9]
	s_delay_alu instid0(VALU_DEP_1) | instskip(SKIP_1) | instid1(TRANS32_DEP_1)
	v_rcp_f64_e32 v[22:23], v[20:21]
	v_nop
	v_fma_f64 v[24:25], -v[20:21], v[22:23], 1.0
	s_delay_alu instid0(VALU_DEP_1) | instskip(NEXT) | instid1(VALU_DEP_1)
	v_fmac_f64_e32 v[22:23], v[22:23], v[24:25]
	v_fma_f64 v[24:25], -v[20:21], v[22:23], 1.0
	s_delay_alu instid0(VALU_DEP_1) | instskip(SKIP_1) | instid1(VALU_DEP_1)
	v_fmac_f64_e32 v[22:23], v[22:23], v[24:25]
	v_div_scale_f64 v[24:25], vcc_lo, v[8:9], v[6:7], v[8:9]
	v_mul_f64_e32 v[26:27], v[24:25], v[22:23]
	s_delay_alu instid0(VALU_DEP_1) | instskip(NEXT) | instid1(VALU_DEP_1)
	v_fma_f64 v[20:21], -v[20:21], v[26:27], v[24:25]
	v_div_fmas_f64 v[20:21], v[20:21], v[22:23], v[26:27]
	s_delay_alu instid0(VALU_DEP_1)
	v_div_fixup_f64 v[6:7], v[20:21], v[6:7], v[8:9]
	s_and_saveexec_b32 s7, s1
; %bb.76:                               ;   in Loop: Header=BB9_63 Depth=1
	ds_store_b64 v17, v[6:7]
; %bb.77:                               ;   in Loop: Header=BB9_63 Depth=1
	s_or_b32 exec_lo, exec_lo, s7
	v_cmp_gt_i32_e32 vcc_lo, s21, v18
	s_and_b32 exec_lo, exec_lo, vcc_lo
	s_cbranch_execz .LBB9_79
; %bb.78:                               ;   in Loop: Header=BB9_63 Depth=1
	ds_load_b64 v[8:9], v12
	ds_load_b64 v[20:21], v11
	s_wait_dscnt 0x0
	v_fma_f64 v[6:7], -v[6:7], v[8:9], v[20:21]
	ds_store_b64 v11, v[6:7]
.LBB9_79:                               ;   in Loop: Header=BB9_63 Depth=1
	s_or_b32 exec_lo, exec_lo, s6
	s_add_co_i32 s6, s5, 1
	s_cbranch_execz .LBB9_67
	s_branch .LBB9_68
.LBB9_80:
	s_mov_b32 s30, -1
	s_branch .LBB9_108
.LBB9_81:
	s_wait_dscnt 0x0
	s_and_saveexec_b32 s1, s0
	s_cbranch_execz .LBB9_83
; %bb.82:
	s_cmp_eq_u32 s24, 0
	s_cselect_b32 vcc_lo, -1, 0
	v_dual_cndmask_b32 v2, v1, v15 :: v_dual_cndmask_b32 v5, v15, v1
	s_delay_alu instid0(VALU_DEP_1)
	v_mad_u32 v4, s33, s21, v2
	ds_load_b64 v[2:3], v10
	v_mad_u32 v4, v4, s21, v5
	s_wait_dscnt 0x0
	global_store_b64 v4, v[2:3], s[8:9] scale_offset
.LBB9_83:
	s_wait_xcnt 0x0
	s_or_b32 exec_lo, exec_lo, s1
.LBB9_84:
	s_add_co_i32 s1, s33, 1
	s_delay_alu instid0(SALU_CYCLE_1)
	s_cmp_ge_i32 s1, s23
	s_cbranch_scc1 .LBB9_108
; %bb.85:
	s_cmp_eq_u32 s24, 0
	s_wait_dscnt 0x0
	v_max_u32_e32 v3, v15, v1
	s_cselect_b32 vcc_lo, -1, 0
	v_dual_cndmask_b32 v5, v1, v15 :: v_dual_lshlrev_b32 v2, 3, v15
	s_cmp_gt_i32 s21, 0
	v_dual_cndmask_b32 v6, v15, v1 :: v_dual_lshlrev_b32 v7, 3, v1
	s_delay_alu instid0(VALU_DEP_2)
	v_add3_u32 v4, v16, v2, 0x240
	v_mul_u32_u24_e32 v2, 0x48, v15
	s_cselect_b32 s2, -1, 0
	s_add_co_i32 s4, s21, -1
	s_and_b32 s3, s21, 3
	s_movk_i32 s6, 0x240
	s_cmp_gt_u32 s4, 2
	v_cmp_gt_u32_e64 s0, s21, v3
	s_cselect_b32 s4, -1, 0
	s_and_b32 s5, s21, 0x7ffffffc
	v_mad_u32_u24 v8, 0x48, v15, s6
	v_add_nc_u32_e32 v9, 8, v7
	v_add3_u32 v10, v2, v7, 0x248
	s_cmp_lg_u32 s3, 0
	s_cselect_b32 s6, -1, 0
	s_branch .LBB9_87
.LBB9_86:                               ;   in Loop: Header=BB9_87 Depth=1
	s_wait_xcnt 0x0
	s_or_b32 exec_lo, exec_lo, s7
	s_add_co_i32 s1, s1, 1
	s_delay_alu instid0(SALU_CYCLE_1)
	s_cmp_lt_i32 s1, s23
	s_cbranch_scc0 .LBB9_108
.LBB9_87:                               ; =>This Loop Header: Depth=1
                                        ;     Child Loop BB9_93 Depth 2
                                        ;     Child Loop BB9_104 Depth 2
	v_mad_u32 v2, s1, s21, v5
	s_wait_storecnt 0x0
	s_delay_alu instid0(VALU_DEP_1)
	v_mad_u32 v11, v2, s21, v6
	v_mov_b64_e32 v[2:3], 0
	s_and_saveexec_b32 s7, s0
	s_cbranch_execz .LBB9_89
; %bb.88:                               ;   in Loop: Header=BB9_87 Depth=1
	global_load_b64 v[2:3], v11, s[8:9] scale_offset
.LBB9_89:                               ;   in Loop: Header=BB9_87 Depth=1
	s_wait_xcnt 0x0
	s_or_b32 exec_lo, exec_lo, s7
	s_delay_alu instid0(SALU_CYCLE_1)
	s_and_not1_b32 vcc_lo, exec_lo, s2
	s_wait_loadcnt 0x0
	ds_store_b64 v4, v[2:3]
	s_wait_dscnt 0x0
	s_cbranch_vccnz .LBB9_106
; %bb.90:                               ;   in Loop: Header=BB9_87 Depth=1
	s_and_not1_b32 vcc_lo, exec_lo, s4
	s_mov_b32 s11, 0
	s_cbranch_vccnz .LBB9_101
; %bb.91:                               ;   in Loop: Header=BB9_87 Depth=1
	v_mov_b32_e32 v2, v8
	s_mov_b32 s7, 0
	s_mov_b32 s10, 8
	s_branch .LBB9_93
.LBB9_92:                               ;   in Loop: Header=BB9_93 Depth=2
	s_or_b32 exec_lo, exec_lo, s11
	v_add_nc_u32_e32 v2, 32, v2
	s_add_co_i32 s7, s7, 4
	s_addk_co_i32 s10, 0x140
	s_cmp_eq_u32 s5, s7
	s_mov_b32 s11, s5
	s_cbranch_scc1 .LBB9_101
.LBB9_93:                               ;   Parent Loop BB9_87 Depth=1
                                        ; =>  This Inner Loop Header: Depth=2
	v_dual_add_nc_u32 v13, s7, v1 :: v_dual_add_nc_u32 v12, s10, v7
	s_delay_alu instid0(VALU_DEP_1) | instskip(NEXT) | instid1(VALU_DEP_1)
	v_add_nc_u32_e32 v3, 1, v13
	v_cmp_gt_i32_e32 vcc_lo, s21, v3
	v_add_nc_u32_e32 v3, v2, v7
	s_and_saveexec_b32 s11, vcc_lo
	s_cbranch_execz .LBB9_95
; %bb.94:                               ;   in Loop: Header=BB9_93 Depth=2
	ds_load_b64 v[16:17], v12
	ds_load_b64 v[18:19], v2
	ds_load_b64 v[20:21], v3 offset:8
	s_wait_dscnt 0x0
	v_fma_f64 v[16:17], -v[16:17], v[18:19], v[20:21]
	ds_store_b64 v3, v[16:17] offset:8
.LBB9_95:                               ;   in Loop: Header=BB9_93 Depth=2
	s_or_b32 exec_lo, exec_lo, s11
	v_add_nc_u32_e32 v15, 2, v13
	s_mov_b32 s11, exec_lo
	s_delay_alu instid0(VALU_DEP_1)
	v_cmpx_gt_i32_e64 s21, v15
	s_cbranch_execz .LBB9_97
; %bb.96:                               ;   in Loop: Header=BB9_93 Depth=2
	ds_load_b64 v[16:17], v12 offset:80
	ds_load_b64 v[18:19], v2 offset:8
	;; [unrolled: 1-line block ×3, first 2 shown]
	s_wait_dscnt 0x0
	v_fma_f64 v[16:17], -v[16:17], v[18:19], v[20:21]
	ds_store_b64 v3, v[16:17] offset:16
.LBB9_97:                               ;   in Loop: Header=BB9_93 Depth=2
	s_or_b32 exec_lo, exec_lo, s11
	v_add_nc_u32_e32 v15, 3, v13
	s_mov_b32 s11, exec_lo
	s_delay_alu instid0(VALU_DEP_1)
	v_cmpx_gt_i32_e64 s21, v15
	s_cbranch_execz .LBB9_99
; %bb.98:                               ;   in Loop: Header=BB9_93 Depth=2
	ds_load_b64 v[16:17], v12 offset:160
	ds_load_b64 v[18:19], v2 offset:16
	;; [unrolled: 1-line block ×3, first 2 shown]
	s_wait_dscnt 0x0
	v_fma_f64 v[16:17], -v[16:17], v[18:19], v[20:21]
	ds_store_b64 v3, v[16:17] offset:24
.LBB9_99:                               ;   in Loop: Header=BB9_93 Depth=2
	s_or_b32 exec_lo, exec_lo, s11
	v_add_nc_u32_e32 v13, 4, v13
	s_mov_b32 s11, exec_lo
	s_delay_alu instid0(VALU_DEP_1)
	v_cmpx_gt_i32_e64 s21, v13
	s_cbranch_execz .LBB9_92
; %bb.100:                              ;   in Loop: Header=BB9_93 Depth=2
	ds_load_b64 v[12:13], v12 offset:240
	ds_load_b64 v[16:17], v2 offset:24
	;; [unrolled: 1-line block ×3, first 2 shown]
	s_wait_dscnt 0x0
	v_fma_f64 v[12:13], -v[12:13], v[16:17], v[18:19]
	ds_store_b64 v3, v[12:13] offset:32
	s_branch .LBB9_92
.LBB9_101:                              ;   in Loop: Header=BB9_87 Depth=1
	s_and_not1_b32 vcc_lo, exec_lo, s6
	s_cbranch_vccnz .LBB9_106
; %bb.102:                              ;   in Loop: Header=BB9_87 Depth=1
	v_mad_u32 v2, 0x50, s11, v9
	s_lshl_b32 s7, s11, 3
	v_add_nc_u32_e32 v13, s11, v14
	v_dual_add_nc_u32 v3, s7, v10 :: v_dual_add_nc_u32 v12, s7, v8
	s_mov_b32 s7, s3
	s_branch .LBB9_104
.LBB9_103:                              ;   in Loop: Header=BB9_104 Depth=2
	s_or_b32 exec_lo, exec_lo, s10
	s_delay_alu instid0(VALU_DEP_4) | instskip(SKIP_3) | instid1(SALU_CYCLE_1)
	v_add_nc_u32_e32 v2, 0x50, v2
	v_dual_add_nc_u32 v3, 8, v3 :: v_dual_add_nc_u32 v12, 8, v12
	v_add_nc_u32_e32 v13, 1, v13
	s_add_co_i32 s7, s7, -1
	s_cmp_lg_u32 s7, 0
	s_cbranch_scc0 .LBB9_106
.LBB9_104:                              ;   Parent Loop BB9_87 Depth=1
                                        ; =>  This Inner Loop Header: Depth=2
	s_mov_b32 s10, exec_lo
	v_cmpx_gt_i32_e64 s21, v13
	s_cbranch_execz .LBB9_103
; %bb.105:                              ;   in Loop: Header=BB9_104 Depth=2
	ds_load_b64 v[16:17], v2
	ds_load_b64 v[18:19], v12
	;; [unrolled: 1-line block ×3, first 2 shown]
	s_wait_dscnt 0x0
	v_fma_f64 v[16:17], -v[16:17], v[18:19], v[20:21]
	ds_store_b64 v3, v[16:17]
	s_branch .LBB9_103
.LBB9_106:                              ;   in Loop: Header=BB9_87 Depth=1
	s_wait_dscnt 0x0
	s_and_saveexec_b32 s7, s0
	s_cbranch_execz .LBB9_86
; %bb.107:                              ;   in Loop: Header=BB9_87 Depth=1
	ds_load_b64 v[2:3], v4
	s_wait_dscnt 0x0
	global_store_b64 v11, v[2:3], s[8:9] scale_offset
	s_branch .LBB9_86
.LBB9_108:
	v_and_b32_e32 v0, 0xfffff, v0
	s_mov_b32 s0, exec_lo
	s_delay_alu instid0(VALU_DEP_1)
	v_cmpx_eq_u32_e32 0, v0
	s_cbranch_execz .LBB9_112
; %bb.109:
	v_dual_mov_b32 v0, 0 :: v_dual_mov_b32 v1, 1
	s_add_nc_u64 s[0:1], s[16:17], s[18:19]
	s_and_not1_b32 vcc_lo, exec_lo, s30
	global_wb scope:SCOPE_DEV
	s_wait_storecnt 0x0
	s_wait_loadcnt_dscnt 0x0
	global_store_b32 v0, v1, s[0:1] scope:SCOPE_DEV
	s_cbranch_vccnz .LBB9_112
; %bb.110:
	s_wait_xcnt 0x0
	v_mbcnt_lo_u32_b32 v0, exec_lo, 0
	s_delay_alu instid0(VALU_DEP_1)
	v_cmp_eq_u32_e32 vcc_lo, 0, v0
	s_and_b32 exec_lo, exec_lo, vcc_lo
	s_cbranch_execz .LBB9_112
; %bb.111:
	s_add_co_i32 s0, s22, s20
	s_delay_alu instid0(SALU_CYCLE_1)
	v_dual_mov_b32 v0, 0 :: v_dual_mov_b32 v1, s0
	global_atomic_min_i32 v0, v1, s[14:15] scope:SCOPE_DEV
.LBB9_112:
	s_endpgm
	.section	.rodata,"a",@progbits
	.p2align	6, 0x0
	.amdhsa_kernel _ZN9rocsparseL11bsrilu0_2_8ILj64ELj64ELj8EdEEv20rocsparse_direction_iPKiS3_PT2_S3_iPiS3_S6_21rocsparse_index_base_imNS_24const_host_device_scalarIfEENS8_IdEENS8_IS4_EEb
		.amdhsa_group_segment_fixed_size 1152
		.amdhsa_private_segment_fixed_size 0
		.amdhsa_kernarg_size 376
		.amdhsa_user_sgpr_count 2
		.amdhsa_user_sgpr_dispatch_ptr 0
		.amdhsa_user_sgpr_queue_ptr 0
		.amdhsa_user_sgpr_kernarg_segment_ptr 1
		.amdhsa_user_sgpr_dispatch_id 0
		.amdhsa_user_sgpr_kernarg_preload_length 0
		.amdhsa_user_sgpr_kernarg_preload_offset 0
		.amdhsa_user_sgpr_private_segment_size 0
		.amdhsa_wavefront_size32 1
		.amdhsa_uses_dynamic_stack 0
		.amdhsa_enable_private_segment 0
		.amdhsa_system_sgpr_workgroup_id_x 1
		.amdhsa_system_sgpr_workgroup_id_y 0
		.amdhsa_system_sgpr_workgroup_id_z 0
		.amdhsa_system_sgpr_workgroup_info 0
		.amdhsa_system_vgpr_workitem_id 1
		.amdhsa_next_free_vgpr 36
		.amdhsa_next_free_sgpr 43
		.amdhsa_named_barrier_count 0
		.amdhsa_reserve_vcc 1
		.amdhsa_float_round_mode_32 0
		.amdhsa_float_round_mode_16_64 0
		.amdhsa_float_denorm_mode_32 3
		.amdhsa_float_denorm_mode_16_64 3
		.amdhsa_fp16_overflow 0
		.amdhsa_memory_ordered 1
		.amdhsa_forward_progress 1
		.amdhsa_inst_pref_size 31
		.amdhsa_round_robin_scheduling 0
		.amdhsa_exception_fp_ieee_invalid_op 0
		.amdhsa_exception_fp_denorm_src 0
		.amdhsa_exception_fp_ieee_div_zero 0
		.amdhsa_exception_fp_ieee_overflow 0
		.amdhsa_exception_fp_ieee_underflow 0
		.amdhsa_exception_fp_ieee_inexact 0
		.amdhsa_exception_int_div_zero 0
	.end_amdhsa_kernel
	.section	.text._ZN9rocsparseL11bsrilu0_2_8ILj64ELj64ELj8EdEEv20rocsparse_direction_iPKiS3_PT2_S3_iPiS3_S6_21rocsparse_index_base_imNS_24const_host_device_scalarIfEENS8_IdEENS8_IS4_EEb,"axG",@progbits,_ZN9rocsparseL11bsrilu0_2_8ILj64ELj64ELj8EdEEv20rocsparse_direction_iPKiS3_PT2_S3_iPiS3_S6_21rocsparse_index_base_imNS_24const_host_device_scalarIfEENS8_IdEENS8_IS4_EEb,comdat
.Lfunc_end9:
	.size	_ZN9rocsparseL11bsrilu0_2_8ILj64ELj64ELj8EdEEv20rocsparse_direction_iPKiS3_PT2_S3_iPiS3_S6_21rocsparse_index_base_imNS_24const_host_device_scalarIfEENS8_IdEENS8_IS4_EEb, .Lfunc_end9-_ZN9rocsparseL11bsrilu0_2_8ILj64ELj64ELj8EdEEv20rocsparse_direction_iPKiS3_PT2_S3_iPiS3_S6_21rocsparse_index_base_imNS_24const_host_device_scalarIfEENS8_IdEENS8_IS4_EEb
                                        ; -- End function
	.set _ZN9rocsparseL11bsrilu0_2_8ILj64ELj64ELj8EdEEv20rocsparse_direction_iPKiS3_PT2_S3_iPiS3_S6_21rocsparse_index_base_imNS_24const_host_device_scalarIfEENS8_IdEENS8_IS4_EEb.num_vgpr, 36
	.set _ZN9rocsparseL11bsrilu0_2_8ILj64ELj64ELj8EdEEv20rocsparse_direction_iPKiS3_PT2_S3_iPiS3_S6_21rocsparse_index_base_imNS_24const_host_device_scalarIfEENS8_IdEENS8_IS4_EEb.num_agpr, 0
	.set _ZN9rocsparseL11bsrilu0_2_8ILj64ELj64ELj8EdEEv20rocsparse_direction_iPKiS3_PT2_S3_iPiS3_S6_21rocsparse_index_base_imNS_24const_host_device_scalarIfEENS8_IdEENS8_IS4_EEb.numbered_sgpr, 43
	.set _ZN9rocsparseL11bsrilu0_2_8ILj64ELj64ELj8EdEEv20rocsparse_direction_iPKiS3_PT2_S3_iPiS3_S6_21rocsparse_index_base_imNS_24const_host_device_scalarIfEENS8_IdEENS8_IS4_EEb.num_named_barrier, 0
	.set _ZN9rocsparseL11bsrilu0_2_8ILj64ELj64ELj8EdEEv20rocsparse_direction_iPKiS3_PT2_S3_iPiS3_S6_21rocsparse_index_base_imNS_24const_host_device_scalarIfEENS8_IdEENS8_IS4_EEb.private_seg_size, 0
	.set _ZN9rocsparseL11bsrilu0_2_8ILj64ELj64ELj8EdEEv20rocsparse_direction_iPKiS3_PT2_S3_iPiS3_S6_21rocsparse_index_base_imNS_24const_host_device_scalarIfEENS8_IdEENS8_IS4_EEb.uses_vcc, 1
	.set _ZN9rocsparseL11bsrilu0_2_8ILj64ELj64ELj8EdEEv20rocsparse_direction_iPKiS3_PT2_S3_iPiS3_S6_21rocsparse_index_base_imNS_24const_host_device_scalarIfEENS8_IdEENS8_IS4_EEb.uses_flat_scratch, 0
	.set _ZN9rocsparseL11bsrilu0_2_8ILj64ELj64ELj8EdEEv20rocsparse_direction_iPKiS3_PT2_S3_iPiS3_S6_21rocsparse_index_base_imNS_24const_host_device_scalarIfEENS8_IdEENS8_IS4_EEb.has_dyn_sized_stack, 0
	.set _ZN9rocsparseL11bsrilu0_2_8ILj64ELj64ELj8EdEEv20rocsparse_direction_iPKiS3_PT2_S3_iPiS3_S6_21rocsparse_index_base_imNS_24const_host_device_scalarIfEENS8_IdEENS8_IS4_EEb.has_recursion, 0
	.set _ZN9rocsparseL11bsrilu0_2_8ILj64ELj64ELj8EdEEv20rocsparse_direction_iPKiS3_PT2_S3_iPiS3_S6_21rocsparse_index_base_imNS_24const_host_device_scalarIfEENS8_IdEENS8_IS4_EEb.has_indirect_call, 0
	.section	.AMDGPU.csdata,"",@progbits
; Kernel info:
; codeLenInByte = 3968
; TotalNumSgprs: 45
; NumVgprs: 36
; ScratchSize: 0
; MemoryBound: 0
; FloatMode: 240
; IeeeMode: 1
; LDSByteSize: 1152 bytes/workgroup (compile time only)
; SGPRBlocks: 0
; VGPRBlocks: 2
; NumSGPRsForWavesPerEU: 45
; NumVGPRsForWavesPerEU: 36
; NamedBarCnt: 0
; Occupancy: 16
; WaveLimiterHint : 1
; COMPUTE_PGM_RSRC2:SCRATCH_EN: 0
; COMPUTE_PGM_RSRC2:USER_SGPR: 2
; COMPUTE_PGM_RSRC2:TRAP_HANDLER: 0
; COMPUTE_PGM_RSRC2:TGID_X_EN: 1
; COMPUTE_PGM_RSRC2:TGID_Y_EN: 0
; COMPUTE_PGM_RSRC2:TGID_Z_EN: 0
; COMPUTE_PGM_RSRC2:TIDIG_COMP_CNT: 1
	.section	.text._ZN9rocsparseL12bsrilu0_9_32ILj64ELj64ELj16EdEEv20rocsparse_direction_iPKiS3_PT2_S3_iPiS3_S6_21rocsparse_index_base_imNS_24const_host_device_scalarIfEENS8_IdEENS8_IS4_EEb,"axG",@progbits,_ZN9rocsparseL12bsrilu0_9_32ILj64ELj64ELj16EdEEv20rocsparse_direction_iPKiS3_PT2_S3_iPiS3_S6_21rocsparse_index_base_imNS_24const_host_device_scalarIfEENS8_IdEENS8_IS4_EEb,comdat
	.globl	_ZN9rocsparseL12bsrilu0_9_32ILj64ELj64ELj16EdEEv20rocsparse_direction_iPKiS3_PT2_S3_iPiS3_S6_21rocsparse_index_base_imNS_24const_host_device_scalarIfEENS8_IdEENS8_IS4_EEb ; -- Begin function _ZN9rocsparseL12bsrilu0_9_32ILj64ELj64ELj16EdEEv20rocsparse_direction_iPKiS3_PT2_S3_iPiS3_S6_21rocsparse_index_base_imNS_24const_host_device_scalarIfEENS8_IdEENS8_IS4_EEb
	.p2align	8
	.type	_ZN9rocsparseL12bsrilu0_9_32ILj64ELj64ELj16EdEEv20rocsparse_direction_iPKiS3_PT2_S3_iPiS3_S6_21rocsparse_index_base_imNS_24const_host_device_scalarIfEENS8_IdEENS8_IS4_EEb,@function
_ZN9rocsparseL12bsrilu0_9_32ILj64ELj64ELj16EdEEv20rocsparse_direction_iPKiS3_PT2_S3_iPiS3_S6_21rocsparse_index_base_imNS_24const_host_device_scalarIfEENS8_IdEENS8_IS4_EEb: ; @_ZN9rocsparseL12bsrilu0_9_32ILj64ELj64ELj16EdEEv20rocsparse_direction_iPKiS3_PT2_S3_iPiS3_S6_21rocsparse_index_base_imNS_24const_host_device_scalarIfEENS8_IdEENS8_IS4_EEb
; %bb.0:
	s_clause 0x2
	s_load_b32 s2, s[0:1], 0x70
	s_load_b64 s[24:25], s[0:1], 0x48
	s_load_b256 s[16:23], s[0:1], 0x50
	s_wait_kmcnt 0x0
	s_bitcmp1_b32 s2, 0
	s_cselect_b32 s2, -1, 0
	s_cmp_eq_u32 s25, 0
	s_cselect_b32 s4, -1, 0
	s_cmp_lg_u32 s25, 0
	s_cselect_b32 s33, -1, 0
	s_or_b32 s6, s4, s2
	s_delay_alu instid0(SALU_CYCLE_1)
	s_xor_b32 s5, s6, -1
	s_and_b32 s2, s4, exec_lo
	s_cselect_b32 s3, 0, s21
	s_cselect_b32 s2, 0, s20
	;; [unrolled: 1-line block ×3, first 2 shown]
	s_and_b32 vcc_lo, exec_lo, s6
	s_cbranch_vccnz .LBB10_2
; %bb.1:
	s_load_b32 s34, s[18:19], 0x0
	s_mov_b64 s[2:3], s[20:21]
.LBB10_2:
	s_delay_alu instid0(SALU_CYCLE_1)
	v_mov_b64_e32 v[4:5], s[2:3]
	v_cndmask_b32_e64 v1, 0, 1, s5
	s_and_not1_b32 vcc_lo, exec_lo, s5
	s_cbranch_vccnz .LBB10_4
; %bb.3:
	v_mov_b32_e32 v2, 0
	flat_load_b64 v[4:5], v2, s[20:21]
.LBB10_4:
	s_and_b32 s2, s4, exec_lo
	s_cselect_b32 s3, 0, s23
	s_cselect_b32 s2, 0, s22
	v_cmp_ne_u32_e32 vcc_lo, 1, v1
	s_wait_xcnt 0x0
	v_mov_b64_e32 v[2:3], s[2:3]
	s_cbranch_vccnz .LBB10_6
; %bb.5:
	v_mov_b32_e32 v1, 0
	flat_load_b64 v[2:3], v1, s[22:23]
.LBB10_6:
	s_wait_xcnt 0x0
	s_load_b128 s[20:23], s[0:1], 0x30
	s_bfe_u32 s2, ttmp6, 0x4000c
	s_and_b32 s3, ttmp6, 15
	s_add_co_i32 s2, s2, 1
	s_getreg_b32 s4, hwreg(HW_REG_IB_STS2, 6, 4)
	s_mul_i32 s2, ttmp9, s2
	s_delay_alu instid0(SALU_CYCLE_1)
	s_add_co_i32 s3, s3, s2
	s_cmp_eq_u32 s4, 0
	s_cselect_b32 s2, ttmp9, s3
	s_load_b64 s[18:19], s[0:1], 0x40
	s_wait_kmcnt 0x0
	s_load_b32 s26, s[22:23], s2 offset:0x0 scale_offset
	s_load_b256 s[8:15], s[0:1], 0x8
	s_wait_kmcnt 0x0
	s_ashr_i32 s27, s26, 31
	s_delay_alu instid0(SALU_CYCLE_1) | instskip(NEXT) | instid1(SALU_CYCLE_1)
	s_lshl_b64 s[22:23], s[26:27], 2
	s_add_nc_u64 s[2:3], s[14:15], s[22:23]
	s_load_b32 s31, s[2:3], 0x0
	s_wait_kmcnt 0x0
	s_cmp_eq_u32 s31, -1
	s_cbranch_scc1 .LBB10_103
; %bb.7:
	s_add_nc_u64 s[2:3], s[8:9], s[22:23]
	s_mov_b32 s25, 0
	s_load_b64 s[4:5], s[2:3], 0x0
	s_clause 0x1
	s_load_b64 s[28:29], s[0:1], 0x0
	s_load_b32 s27, s[0:1], 0x28
	s_wait_kmcnt 0x0
	s_sub_co_i32 s35, s4, s24
	s_sub_co_i32 s30, s5, s24
	s_cmp_ge_i32 s35, s31
	s_cbranch_scc1 .LBB10_92
; %bb.8:
	v_and_b32_e32 v14, 0x3ff, v0
	v_bfe_u32 v1, v0, 10, 10
	s_cmp_lg_u32 s28, 0
	s_mul_i32 s38, s27, s27
	s_cselect_b32 s36, -1, 0
	v_mad_u32 v8, s27, s35, v14
	v_dual_lshlrev_b32 v6, 4, v1 :: v_dual_lshlrev_b32 v10, 3, v14
	v_cmp_gt_i32_e64 s0, s27, v14
	v_cmp_le_i32_e64 s1, s27, v14
	v_cmp_gt_i32_e64 s2, s27, v1
	s_delay_alu instid0(VALU_DEP_4)
	v_add3_u32 v6, v6, v14, s35
	v_add_nc_u32_e32 v15, 1, v1
	v_mad_u32_u24 v16, 0x88, v1, v10
	v_cmp_eq_u32_e64 s3, 0, v1
	v_mul_u32_u24_e32 v17, 0x88, v1
	v_mul_lo_u32 v18, s27, v8
	v_ashrrev_i32_e32 v7, 31, v6
	v_cmp_gt_i32_e64 s4, s30, v6
	v_add_nc_u32_e32 v19, 0x908, v16
	v_mad_u32_u24 v20, 0x88, v1, 0x88
	v_add_nc_u32_e32 v21, 0x880, v10
	v_lshl_add_u64 v[8:9], v[6:7], 2, s[10:11]
	v_dual_mov_b32 v22, 0 :: v_dual_add_nc_u32 v7, 0x880, v16
	s_cmp_gt_i32 s27, 0
	s_cselect_b32 s37, -1, 0
	s_add_co_i32 s29, s29, 1
	s_lshl_b32 s39, s27, 4
	s_branch .LBB10_11
.LBB10_9:                               ;   in Loop: Header=BB10_11 Depth=1
	s_mov_b32 s25, -1
.LBB10_10:                              ;   in Loop: Header=BB10_11 Depth=1
	s_add_co_i32 s35, s35, 1
	v_add_nc_u32_e32 v18, s38, v18
	s_cmp_lt_i32 s35, s31
	s_cselect_b32 s6, -1, 0
	s_delay_alu instid0(SALU_CYCLE_1) | instskip(NEXT) | instid1(SALU_CYCLE_1)
	s_and_b32 s5, s5, s6
	s_and_b32 vcc_lo, exec_lo, s5
	s_cbranch_vccz .LBB10_92
.LBB10_11:                              ; =>This Loop Header: Depth=1
                                        ;     Child Loop BB10_14 Depth 2
                                        ;       Child Loop BB10_17 Depth 3
                                        ;     Child Loop BB10_23 Depth 2
                                        ;     Child Loop BB10_27 Depth 2
                                        ;       Child Loop BB10_30 Depth 3
                                        ;     Child Loop BB10_37 Depth 2
                                        ;       Child Loop BB10_40 Depth 3
                                        ;         Child Loop BB10_44 Depth 4
                                        ;     Child Loop BB10_48 Depth 2
                                        ;       Child Loop BB10_51 Depth 3
                                        ;     Child Loop BB10_60 Depth 2
                                        ;       Child Loop BB10_65 Depth 3
                                        ;       Child Loop BB10_74 Depth 3
                                        ;         Child Loop BB10_77 Depth 4
                                        ;       Child Loop BB10_83 Depth 3
                                        ;         Child Loop BB10_86 Depth 4
                                        ;           Child Loop BB10_87 Depth 5
	s_wait_xcnt 0x0
	v_mov_b32_e32 v10, s35
	global_load_b32 v10, v10, s[10:11] scale_offset
	s_wait_loadcnt 0x0
	v_readfirstlane_b32 s5, v10
	s_wait_xcnt 0x0
	s_and_saveexec_b32 s6, s0
	s_cbranch_execz .LBB10_21
; %bb.12:                               ;   in Loop: Header=BB10_11 Depth=1
	v_dual_mov_b32 v10, v7 :: v_dual_mov_b32 v11, v18
	v_mov_b32_e32 v12, v14
	s_mul_i32 s7, s35, s27
	s_mov_b32 s40, 0
	s_branch .LBB10_14
.LBB10_13:                              ;   in Loop: Header=BB10_14 Depth=2
	s_or_b32 exec_lo, exec_lo, s41
	v_dual_add_nc_u32 v12, 16, v12 :: v_dual_add_nc_u32 v11, s39, v11
	v_add_nc_u32_e32 v10, 0x80, v10
	s_delay_alu instid0(VALU_DEP_2) | instskip(SKIP_1) | instid1(SALU_CYCLE_1)
	v_cmp_le_i32_e32 vcc_lo, s27, v12
	s_or_b32 s40, vcc_lo, s40
	s_and_not1_b32 exec_lo, exec_lo, s40
	s_cbranch_execz .LBB10_21
.LBB10_14:                              ;   Parent Loop BB10_11 Depth=1
                                        ; =>  This Loop Header: Depth=2
                                        ;       Child Loop BB10_17 Depth 3
	s_and_saveexec_b32 s41, s2
	s_cbranch_execz .LBB10_13
; %bb.15:                               ;   in Loop: Header=BB10_14 Depth=2
	v_dual_mov_b32 v13, v10 :: v_dual_mov_b32 v23, v1
	s_mov_b32 s42, 0
	s_branch .LBB10_17
.LBB10_16:                              ;   in Loop: Header=BB10_17 Depth=3
	global_load_b64 v[24:25], v24, s[12:13] scale_offset
	v_add_nc_u32_e32 v23, 4, v23
	s_delay_alu instid0(VALU_DEP_1)
	v_cmp_le_i32_e32 vcc_lo, s27, v23
	s_or_b32 s42, vcc_lo, s42
	s_wait_loadcnt 0x0
	ds_store_b64 v13, v[24:25]
	v_add_nc_u32_e32 v13, 0x220, v13
	s_wait_xcnt 0x0
	s_and_not1_b32 exec_lo, exec_lo, s42
	s_cbranch_execz .LBB10_13
.LBB10_17:                              ;   Parent Loop BB10_11 Depth=1
                                        ;     Parent Loop BB10_14 Depth=2
                                        ; =>    This Inner Loop Header: Depth=3
	s_and_b32 vcc_lo, exec_lo, s36
	s_cbranch_vccz .LBB10_19
; %bb.18:                               ;   in Loop: Header=BB10_17 Depth=3
	v_add_nc_u32_e32 v24, s7, v23
	s_delay_alu instid0(VALU_DEP_1)
	v_mad_u32 v24, v24, s27, v12
	s_cbranch_execnz .LBB10_16
	s_branch .LBB10_20
.LBB10_19:                              ;   in Loop: Header=BB10_17 Depth=3
                                        ; implicit-def: $vgpr24
.LBB10_20:                              ;   in Loop: Header=BB10_17 Depth=3
	v_add_nc_u32_e32 v24, v11, v23
	s_branch .LBB10_16
.LBB10_21:                              ;   in Loop: Header=BB10_11 Depth=1
	s_or_b32 exec_lo, exec_lo, s6
	s_sub_co_i32 s6, s5, s24
	s_delay_alu instid0(SALU_CYCLE_1)
	v_mov_b32_e32 v10, s6
	global_load_b32 v10, v10, s[14:15] scale_offset
	s_wait_loadcnt 0x0
	v_cmp_eq_u32_e32 vcc_lo, -1, v10
	v_readfirstlane_b32 s40, v10
	v_cmp_ne_u32_e64 s5, -1, v10
	s_cbranch_vccnz .LBB10_9
; %bb.22:                               ;   in Loop: Header=BB10_11 Depth=1
	s_ashr_i32 s7, s6, 31
	s_delay_alu instid0(SALU_CYCLE_1) | instskip(NEXT) | instid1(SALU_CYCLE_1)
	s_lshl_b64 s[6:7], s[6:7], 2
	s_add_nc_u64 s[42:43], s[8:9], s[6:7]
	s_add_nc_u64 s[6:7], s[20:21], s[6:7]
	global_load_b32 v10, v22, s[42:43] offset:4
	s_wait_loadcnt 0x0
	v_readfirstlane_b32 s41, v10
.LBB10_23:                              ;   Parent Loop BB10_11 Depth=1
                                        ; =>  This Inner Loop Header: Depth=2
	global_load_b32 v10, v22, s[6:7] scope:SCOPE_DEV
	s_wait_loadcnt 0x0
	v_cmp_eq_u32_e32 vcc_lo, 0, v10
	s_cbranch_vccnz .LBB10_23
; %bb.24:                               ;   in Loop: Header=BB10_11 Depth=1
	s_wait_dscnt 0x0
	global_inv scope:SCOPE_DEV
	s_wait_xcnt 0x0
	s_and_saveexec_b32 s6, s0
	s_cbranch_execz .LBB10_34
; %bb.25:                               ;   in Loop: Header=BB10_11 Depth=1
	s_mul_i32 s7, s40, s27
	s_delay_alu instid0(SALU_CYCLE_1) | instskip(SKIP_2) | instid1(VALU_DEP_2)
	v_dual_mov_b32 v12, v14 :: v_dual_add_nc_u32 v10, s7, v14
	v_mov_b32_e32 v11, v16
	s_mov_b32 s42, 0
	v_mul_lo_u32 v10, s27, v10
	s_branch .LBB10_27
.LBB10_26:                              ;   in Loop: Header=BB10_27 Depth=2
	s_or_b32 exec_lo, exec_lo, s43
	s_delay_alu instid0(VALU_DEP_1) | instskip(SKIP_1) | instid1(VALU_DEP_2)
	v_dual_add_nc_u32 v12, 16, v12 :: v_dual_add_nc_u32 v10, s39, v10
	v_add_nc_u32_e32 v11, 0x80, v11
	v_cmp_le_i32_e32 vcc_lo, s27, v12
	s_or_b32 s42, vcc_lo, s42
	s_delay_alu instid0(SALU_CYCLE_1)
	s_and_not1_b32 exec_lo, exec_lo, s42
	s_cbranch_execz .LBB10_34
.LBB10_27:                              ;   Parent Loop BB10_11 Depth=1
                                        ; =>  This Loop Header: Depth=2
                                        ;       Child Loop BB10_30 Depth 3
	s_and_saveexec_b32 s43, s2
	s_cbranch_execz .LBB10_26
; %bb.28:                               ;   in Loop: Header=BB10_27 Depth=2
	v_dual_mov_b32 v13, v11 :: v_dual_mov_b32 v23, v1
	s_mov_b32 s44, 0
	s_branch .LBB10_30
.LBB10_29:                              ;   in Loop: Header=BB10_30 Depth=3
	global_load_b64 v[24:25], v24, s[12:13] scale_offset
	v_add_nc_u32_e32 v23, 4, v23
	s_delay_alu instid0(VALU_DEP_1)
	v_cmp_le_i32_e32 vcc_lo, s27, v23
	s_or_b32 s44, vcc_lo, s44
	s_wait_loadcnt 0x0
	ds_store_b64 v13, v[24:25]
	v_add_nc_u32_e32 v13, 0x220, v13
	s_wait_xcnt 0x0
	s_and_not1_b32 exec_lo, exec_lo, s44
	s_cbranch_execz .LBB10_26
.LBB10_30:                              ;   Parent Loop BB10_11 Depth=1
                                        ;     Parent Loop BB10_27 Depth=2
                                        ; =>    This Inner Loop Header: Depth=3
	s_and_b32 vcc_lo, exec_lo, s36
	s_cbranch_vccz .LBB10_32
; %bb.31:                               ;   in Loop: Header=BB10_30 Depth=3
	v_add_nc_u32_e32 v24, s7, v23
	s_delay_alu instid0(VALU_DEP_1)
	v_mad_u32 v24, v24, s27, v12
	s_cbranch_execnz .LBB10_29
	s_branch .LBB10_33
.LBB10_32:                              ;   in Loop: Header=BB10_30 Depth=3
                                        ; implicit-def: $vgpr24
.LBB10_33:                              ;   in Loop: Header=BB10_30 Depth=3
	s_delay_alu instid0(VALU_DEP_2)
	v_add_nc_u32_e32 v24, v10, v23
	s_branch .LBB10_29
.LBB10_34:                              ;   in Loop: Header=BB10_11 Depth=1
	s_or_b32 exec_lo, exec_lo, s6
	s_delay_alu instid0(SALU_CYCLE_1)
	s_and_not1_b32 vcc_lo, exec_lo, s37
	s_wait_loadcnt_dscnt 0x0
	s_cbranch_vccnz .LBB10_45
; %bb.35:                               ;   in Loop: Header=BB10_11 Depth=1
	v_dual_mov_b32 v23, v20 :: v_dual_mov_b32 v24, v19
	s_mov_b32 s7, 0
	s_branch .LBB10_37
.LBB10_36:                              ;   in Loop: Header=BB10_37 Depth=2
	s_or_b32 exec_lo, exec_lo, s42
	v_add_nc_u32_e32 v24, 0x88, v24
	v_add_nc_u32_e32 v23, 0x90, v23
	s_add_co_i32 s7, s7, 1
	s_wait_dscnt 0x0
	s_cmp_eq_u32 s7, s27
	s_cbranch_scc1 .LBB10_45
.LBB10_37:                              ;   Parent Loop BB10_11 Depth=1
                                        ; =>  This Loop Header: Depth=2
                                        ;       Child Loop BB10_40 Depth 3
                                        ;         Child Loop BB10_44 Depth 4
	s_and_saveexec_b32 s42, s0
	s_cbranch_execz .LBB10_36
; %bb.38:                               ;   in Loop: Header=BB10_37 Depth=2
	s_mul_i32 s43, s7, 0x88
	s_lshl_b32 s6, s7, 3
	v_dual_mov_b32 v26, v24 :: v_dual_mov_b32 v27, v14
	s_add_co_i32 s6, s43, s6
	s_delay_alu instid0(SALU_CYCLE_1) | instskip(SKIP_2) | instid1(VALU_DEP_1)
	v_dual_mov_b32 v10, s6 :: v_dual_add_nc_u32 v25, s7, v15
	s_addk_co_i32 s43, 0x880
	s_mov_b32 s44, 0
	v_cmp_gt_i32_e64 s6, s27, v25
	ds_load_b64 v[10:11], v10
	s_branch .LBB10_40
.LBB10_39:                              ;   in Loop: Header=BB10_40 Depth=3
	s_or_b32 exec_lo, exec_lo, s45
	v_add_nc_u32_e32 v27, 16, v27
	v_add_nc_u32_e32 v26, 0x80, v26
	s_delay_alu instid0(VALU_DEP_2) | instskip(SKIP_1) | instid1(SALU_CYCLE_1)
	v_cmp_le_i32_e32 vcc_lo, s27, v27
	s_or_b32 s44, vcc_lo, s44
	s_and_not1_b32 exec_lo, exec_lo, s44
	s_cbranch_execz .LBB10_36
.LBB10_40:                              ;   Parent Loop BB10_11 Depth=1
                                        ;     Parent Loop BB10_37 Depth=2
                                        ; =>    This Loop Header: Depth=3
                                        ;         Child Loop BB10_44 Depth 4
	v_lshl_add_u32 v28, v27, 3, s43
	ds_load_b64 v[12:13], v28
	s_wait_dscnt 0x0
	v_div_scale_f64 v[30:31], null, v[10:11], v[10:11], v[12:13]
	s_delay_alu instid0(VALU_DEP_1) | instskip(SKIP_1) | instid1(TRANS32_DEP_1)
	v_rcp_f64_e32 v[32:33], v[30:31]
	v_nop
	v_fma_f64 v[34:35], -v[30:31], v[32:33], 1.0
	s_delay_alu instid0(VALU_DEP_1) | instskip(NEXT) | instid1(VALU_DEP_1)
	v_fmac_f64_e32 v[32:33], v[32:33], v[34:35]
	v_fma_f64 v[34:35], -v[30:31], v[32:33], 1.0
	s_delay_alu instid0(VALU_DEP_1) | instskip(SKIP_1) | instid1(VALU_DEP_1)
	v_fmac_f64_e32 v[32:33], v[32:33], v[34:35]
	v_div_scale_f64 v[34:35], vcc_lo, v[12:13], v[10:11], v[12:13]
	v_mul_f64_e32 v[36:37], v[34:35], v[32:33]
	s_delay_alu instid0(VALU_DEP_1) | instskip(NEXT) | instid1(VALU_DEP_1)
	v_fma_f64 v[30:31], -v[30:31], v[36:37], v[34:35]
	v_div_fmas_f64 v[30:31], v[30:31], v[32:33], v[36:37]
	s_delay_alu instid0(VALU_DEP_1)
	v_div_fixup_f64 v[12:13], v[30:31], v[10:11], v[12:13]
	s_and_saveexec_b32 s45, s3
; %bb.41:                               ;   in Loop: Header=BB10_40 Depth=3
	ds_store_b64 v28, v[12:13]
; %bb.42:                               ;   in Loop: Header=BB10_40 Depth=3
	s_or_b32 exec_lo, exec_lo, s45
	s_and_saveexec_b32 s45, s6
	s_cbranch_execz .LBB10_39
; %bb.43:                               ;   in Loop: Header=BB10_40 Depth=3
	v_dual_mov_b32 v28, v23 :: v_dual_mov_b32 v29, v26
	v_mov_b32_e32 v30, v25
	s_mov_b32 s46, 0
.LBB10_44:                              ;   Parent Loop BB10_11 Depth=1
                                        ;     Parent Loop BB10_37 Depth=2
                                        ;       Parent Loop BB10_40 Depth=3
                                        ; =>      This Inner Loop Header: Depth=4
	ds_load_b64 v[32:33], v28
	ds_load_b64 v[34:35], v29
	v_add_nc_u32_e32 v28, 0x220, v28
	v_add_nc_u32_e32 v30, 4, v30
	s_delay_alu instid0(VALU_DEP_1)
	v_cmp_le_i32_e32 vcc_lo, s27, v30
	s_or_b32 s46, vcc_lo, s46
	s_wait_dscnt 0x0
	v_fma_f64 v[32:33], -v[12:13], v[32:33], v[34:35]
	ds_store_b64 v29, v[32:33]
	v_add_nc_u32_e32 v29, 0x220, v29
	s_and_not1_b32 exec_lo, exec_lo, s46
	s_cbranch_execnz .LBB10_44
	s_branch .LBB10_39
.LBB10_45:                              ;   in Loop: Header=BB10_11 Depth=1
	s_and_saveexec_b32 s6, s0
	s_cbranch_execz .LBB10_55
; %bb.46:                               ;   in Loop: Header=BB10_11 Depth=1
	v_dual_mov_b32 v12, v7 :: v_dual_mov_b32 v13, v18
	v_mov_b32_e32 v23, v14
	s_mul_i32 s7, s35, s27
	s_mov_b32 s42, 0
	s_branch .LBB10_48
.LBB10_47:                              ;   in Loop: Header=BB10_48 Depth=2
	s_or_b32 exec_lo, exec_lo, s43
	v_dual_add_nc_u32 v23, 16, v23 :: v_dual_add_nc_u32 v13, s39, v13
	v_add_nc_u32_e32 v12, 0x80, v12
	s_delay_alu instid0(VALU_DEP_2) | instskip(SKIP_1) | instid1(SALU_CYCLE_1)
	v_cmp_le_i32_e32 vcc_lo, s27, v23
	s_or_b32 s42, vcc_lo, s42
	s_and_not1_b32 exec_lo, exec_lo, s42
	s_cbranch_execz .LBB10_55
.LBB10_48:                              ;   Parent Loop BB10_11 Depth=1
                                        ; =>  This Loop Header: Depth=2
                                        ;       Child Loop BB10_51 Depth 3
	s_and_saveexec_b32 s43, s2
	s_cbranch_execz .LBB10_47
; %bb.49:                               ;   in Loop: Header=BB10_48 Depth=2
	v_dual_mov_b32 v24, v12 :: v_dual_mov_b32 v25, v1
	s_mov_b32 s44, 0
	s_branch .LBB10_51
.LBB10_50:                              ;   in Loop: Header=BB10_51 Depth=3
	v_add_nc_u32_e32 v25, 4, v25
	v_add_nc_u32_e32 v24, 0x220, v24
	s_wait_dscnt 0x0
	global_store_b64 v26, v[10:11], s[12:13] scale_offset
	v_cmp_le_i32_e32 vcc_lo, s27, v25
	s_or_b32 s44, vcc_lo, s44
	s_wait_xcnt 0x0
	s_and_not1_b32 exec_lo, exec_lo, s44
	s_cbranch_execz .LBB10_47
.LBB10_51:                              ;   Parent Loop BB10_11 Depth=1
                                        ;     Parent Loop BB10_48 Depth=2
                                        ; =>    This Inner Loop Header: Depth=3
	ds_load_b64 v[10:11], v24
	s_and_b32 vcc_lo, exec_lo, s36
	s_cbranch_vccz .LBB10_53
; %bb.52:                               ;   in Loop: Header=BB10_51 Depth=3
	v_add_nc_u32_e32 v26, s7, v25
	s_delay_alu instid0(VALU_DEP_1)
	v_mad_u32 v26, v26, s27, v23
	s_cbranch_execnz .LBB10_50
	s_branch .LBB10_54
.LBB10_53:                              ;   in Loop: Header=BB10_51 Depth=3
                                        ; implicit-def: $vgpr26
.LBB10_54:                              ;   in Loop: Header=BB10_51 Depth=3
	v_add_nc_u32_e32 v26, v13, v25
	s_branch .LBB10_50
.LBB10_55:                              ;   in Loop: Header=BB10_11 Depth=1
	s_or_b32 exec_lo, exec_lo, s6
	s_sub_co_i32 s6, s41, s24
	s_add_co_i32 s7, s40, 1
	s_delay_alu instid0(SALU_CYCLE_1)
	s_cmp_ge_i32 s7, s6
	s_cbranch_scc1 .LBB10_10
; %bb.56:                               ;   in Loop: Header=BB10_11 Depth=1
	v_mad_u32 v10, s27, s7, v14
	s_delay_alu instid0(VALU_DEP_1)
	v_mul_lo_u32 v12, s27, v10
	s_branch .LBB10_60
.LBB10_57:                              ;   in Loop: Header=BB10_60 Depth=2
	s_or_b32 exec_lo, exec_lo, s41
.LBB10_58:                              ;   in Loop: Header=BB10_60 Depth=2
	s_delay_alu instid0(SALU_CYCLE_1)
	s_or_b32 exec_lo, exec_lo, s40
.LBB10_59:                              ;   in Loop: Header=BB10_60 Depth=2
	v_add_nc_u32_e32 v12, s38, v12
	s_add_co_i32 s7, s7, 1
	s_wait_storecnt_dscnt 0x0
	s_cmp_lt_i32 s7, s6
	s_cbranch_scc0 .LBB10_10
.LBB10_60:                              ;   Parent Loop BB10_11 Depth=1
                                        ; =>  This Loop Header: Depth=2
                                        ;       Child Loop BB10_65 Depth 3
                                        ;       Child Loop BB10_74 Depth 3
                                        ;         Child Loop BB10_77 Depth 4
                                        ;       Child Loop BB10_83 Depth 3
                                        ;         Child Loop BB10_86 Depth 4
                                        ;           Child Loop BB10_87 Depth 5
	v_dual_mov_b32 v10, s7 :: v_dual_mov_b32 v11, s29
	global_load_b32 v10, v10, s[10:11] scale_offset
	s_wait_xcnt 0x0
	s_and_saveexec_b32 s40, s4
	s_cbranch_execz .LBB10_62
; %bb.61:                               ;   in Loop: Header=BB10_60 Depth=2
	global_load_b32 v11, v[8:9], off
	s_wait_loadcnt 0x0
	v_subrev_nc_u32_e32 v11, s24, v11
.LBB10_62:                              ;   in Loop: Header=BB10_60 Depth=2
	s_wait_xcnt 0x0
	s_or_b32 exec_lo, exec_lo, s40
	s_wait_loadcnt 0x0
	v_subrev_nc_u32_e32 v10, s24, v10
	v_mov_b32_e32 v13, v6
	s_mov_b32 s40, exec_lo
	s_delay_alu instid0(VALU_DEP_2)
	v_cmpx_lt_i32_e64 v11, v10
	s_cbranch_execz .LBB10_68
; %bb.63:                               ;   in Loop: Header=BB10_60 Depth=2
	v_mov_b32_e32 v23, v6
	s_mov_b32 s41, 0
	s_branch .LBB10_65
.LBB10_64:                              ;   in Loop: Header=BB10_65 Depth=3
	s_wait_xcnt 0x0
	s_or_b32 exec_lo, exec_lo, s42
	s_delay_alu instid0(VALU_DEP_1) | instskip(SKIP_2) | instid1(SALU_CYCLE_1)
	v_cmp_ge_i32_e32 vcc_lo, v11, v10
	v_mov_b32_e32 v23, v13
	s_or_b32 s41, vcc_lo, s41
	s_and_not1_b32 exec_lo, exec_lo, s41
	s_cbranch_execz .LBB10_67
.LBB10_65:                              ;   Parent Loop BB10_11 Depth=1
                                        ;     Parent Loop BB10_60 Depth=2
                                        ; =>    This Inner Loop Header: Depth=3
	s_delay_alu instid0(VALU_DEP_1) | instskip(SKIP_1) | instid1(VALU_DEP_1)
	v_dual_add_nc_u32 v13, 64, v23 :: v_dual_mov_b32 v11, s29
	s_mov_b32 s42, exec_lo
	v_cmpx_gt_i32_e64 s30, v13
	s_cbranch_execz .LBB10_64
; %bb.66:                               ;   in Loop: Header=BB10_65 Depth=3
	global_load_b32 v11, v23, s[10:11] offset:256 scale_offset
	s_wait_loadcnt 0x0
	v_subrev_nc_u32_e32 v11, s24, v11
	s_branch .LBB10_64
.LBB10_67:                              ;   in Loop: Header=BB10_60 Depth=2
	s_or_b32 exec_lo, exec_lo, s41
.LBB10_68:                              ;   in Loop: Header=BB10_60 Depth=2
	s_delay_alu instid0(SALU_CYCLE_1)
	s_or_b32 exec_lo, exec_lo, s40
	v_cmp_eq_u32_e32 vcc_lo, v11, v10
	s_cbranch_vccz .LBB10_59
; %bb.69:                               ;   in Loop: Header=BB10_60 Depth=2
	s_ctz_i32_b32 s40, vcc_lo
	s_delay_alu instid0(SALU_CYCLE_1) | instskip(NEXT) | instid1(SALU_CYCLE_1)
	s_lshl_b32 s40, s40, 2
	v_mov_b32_e32 v10, s40
	ds_bpermute_b32 v10, v10, v13
	s_and_saveexec_b32 s40, s1
	s_delay_alu instid0(SALU_CYCLE_1)
	s_xor_b32 s40, exec_lo, s40
	s_cbranch_execz .LBB10_71
; %bb.70:                               ;   in Loop: Header=BB10_60 Depth=2
                                        ; implicit-def: $vgpr10
	s_wait_storecnt_dscnt 0x0
.LBB10_71:                              ;   in Loop: Header=BB10_60 Depth=2
	s_and_not1_saveexec_b32 s40, s40
	s_cbranch_execz .LBB10_58
; %bb.72:                               ;   in Loop: Header=BB10_60 Depth=2
	v_dual_mov_b32 v11, v16 :: v_dual_mov_b32 v13, v12
	v_mov_b32_e32 v23, v14
	s_mul_i32 s42, s7, s27
	s_mov_b32 s41, 0
	s_branch .LBB10_74
.LBB10_73:                              ;   in Loop: Header=BB10_74 Depth=3
	s_or_b32 exec_lo, exec_lo, s43
	v_dual_add_nc_u32 v23, 16, v23 :: v_dual_add_nc_u32 v13, s39, v13
	v_add_nc_u32_e32 v11, 0x80, v11
	s_delay_alu instid0(VALU_DEP_2) | instskip(SKIP_1) | instid1(SALU_CYCLE_1)
	v_cmp_le_i32_e32 vcc_lo, s27, v23
	s_or_b32 s41, vcc_lo, s41
	s_and_not1_b32 exec_lo, exec_lo, s41
	s_cbranch_execz .LBB10_81
.LBB10_74:                              ;   Parent Loop BB10_11 Depth=1
                                        ;     Parent Loop BB10_60 Depth=2
                                        ; =>    This Loop Header: Depth=3
                                        ;         Child Loop BB10_77 Depth 4
	s_and_saveexec_b32 s43, s2
	s_cbranch_execz .LBB10_73
; %bb.75:                               ;   in Loop: Header=BB10_74 Depth=3
	v_dual_mov_b32 v24, v11 :: v_dual_mov_b32 v25, v1
	s_mov_b32 s44, 0
	s_branch .LBB10_77
.LBB10_76:                              ;   in Loop: Header=BB10_77 Depth=4
	global_load_b64 v[26:27], v26, s[12:13] scale_offset
	v_add_nc_u32_e32 v25, 4, v25
	s_delay_alu instid0(VALU_DEP_1)
	v_cmp_le_i32_e32 vcc_lo, s27, v25
	s_or_b32 s44, vcc_lo, s44
	s_wait_loadcnt 0x0
	ds_store_b64 v24, v[26:27]
	v_add_nc_u32_e32 v24, 0x220, v24
	s_wait_xcnt 0x0
	s_and_not1_b32 exec_lo, exec_lo, s44
	s_cbranch_execz .LBB10_73
.LBB10_77:                              ;   Parent Loop BB10_11 Depth=1
                                        ;     Parent Loop BB10_60 Depth=2
                                        ;       Parent Loop BB10_74 Depth=3
                                        ; =>      This Inner Loop Header: Depth=4
	s_and_b32 vcc_lo, exec_lo, s36
	s_cbranch_vccz .LBB10_79
; %bb.78:                               ;   in Loop: Header=BB10_77 Depth=4
	v_add_nc_u32_e32 v26, s42, v25
	s_delay_alu instid0(VALU_DEP_1)
	v_mad_u32 v26, v26, s27, v23
	s_cbranch_execnz .LBB10_76
	s_branch .LBB10_80
.LBB10_79:                              ;   in Loop: Header=BB10_77 Depth=4
                                        ; implicit-def: $vgpr26
.LBB10_80:                              ;   in Loop: Header=BB10_77 Depth=4
	v_add_nc_u32_e32 v26, v13, v25
	s_branch .LBB10_76
.LBB10_81:                              ;   in Loop: Header=BB10_60 Depth=2
	s_or_b32 exec_lo, exec_lo, s41
	s_wait_dscnt 0x0
	v_mul_lo_u32 v13, v10, s27
	v_dual_mov_b32 v23, v21 :: v_dual_mov_b32 v24, v14
	s_mov_b32 s41, 0
	s_wait_storecnt 0x0
	s_branch .LBB10_83
.LBB10_82:                              ;   in Loop: Header=BB10_83 Depth=3
	s_or_b32 exec_lo, exec_lo, s42
	v_add_nc_u32_e32 v24, 16, v24
	v_add_nc_u32_e32 v23, 0x80, v23
	s_delay_alu instid0(VALU_DEP_2) | instskip(SKIP_1) | instid1(SALU_CYCLE_1)
	v_cmp_le_i32_e32 vcc_lo, s27, v24
	s_or_b32 s41, vcc_lo, s41
	s_and_not1_b32 exec_lo, exec_lo, s41
	s_cbranch_execz .LBB10_57
.LBB10_83:                              ;   Parent Loop BB10_11 Depth=1
                                        ;     Parent Loop BB10_60 Depth=2
                                        ; =>    This Loop Header: Depth=3
                                        ;         Child Loop BB10_86 Depth 4
                                        ;           Child Loop BB10_87 Depth 5
	s_and_saveexec_b32 s42, s2
	s_cbranch_execz .LBB10_82
; %bb.84:                               ;   in Loop: Header=BB10_83 Depth=3
	s_delay_alu instid0(VALU_DEP_2) | instskip(SKIP_2) | instid1(VALU_DEP_2)
	v_dual_add_nc_u32 v10, v24, v13 :: v_dual_mov_b32 v26, v17
	v_mov_b32_e32 v27, v1
	s_mov_b32 s43, 0
	v_mul_lo_u32 v25, v10, s27
	s_branch .LBB10_86
.LBB10_85:                              ;   in Loop: Header=BB10_86 Depth=4
	global_load_b64 v[30:31], v28, s[12:13] scale_offset
	v_add_nc_u32_e32 v27, 4, v27
	v_add_nc_u32_e32 v26, 0x220, v26
	s_delay_alu instid0(VALU_DEP_2)
	v_cmp_le_i32_e32 vcc_lo, s27, v27
	s_or_b32 s43, vcc_lo, s43
	s_wait_loadcnt 0x0
	v_add_f64_e64 v[10:11], v[30:31], -v[10:11]
	global_store_b64 v28, v[10:11], s[12:13] scale_offset
	s_wait_xcnt 0x0
	s_and_not1_b32 exec_lo, exec_lo, s43
	s_cbranch_execz .LBB10_82
.LBB10_86:                              ;   Parent Loop BB10_11 Depth=1
                                        ;     Parent Loop BB10_60 Depth=2
                                        ;       Parent Loop BB10_83 Depth=3
                                        ; =>      This Loop Header: Depth=4
                                        ;           Child Loop BB10_87 Depth 5
	v_mov_b64_e32 v[10:11], 0
	v_dual_mov_b32 v28, v23 :: v_dual_mov_b32 v29, v26
	s_mov_b32 s44, s27
.LBB10_87:                              ;   Parent Loop BB10_11 Depth=1
                                        ;     Parent Loop BB10_60 Depth=2
                                        ;       Parent Loop BB10_83 Depth=3
                                        ;         Parent Loop BB10_86 Depth=4
                                        ; =>        This Inner Loop Header: Depth=5
	ds_load_b64 v[30:31], v28
	ds_load_b64 v[32:33], v29
	v_add_nc_u32_e32 v29, 8, v29
	v_add_nc_u32_e32 v28, 0x88, v28
	s_add_co_i32 s44, s44, -1
	s_delay_alu instid0(SALU_CYCLE_1)
	s_cmp_eq_u32 s44, 0
	s_wait_dscnt 0x0
	v_fmac_f64_e32 v[10:11], v[30:31], v[32:33]
	s_cbranch_scc0 .LBB10_87
; %bb.88:                               ;   in Loop: Header=BB10_86 Depth=4
	s_and_b32 vcc_lo, exec_lo, s36
	s_cbranch_vccz .LBB10_90
; %bb.89:                               ;   in Loop: Header=BB10_86 Depth=4
	v_add_nc_u32_e32 v28, v27, v13
	s_delay_alu instid0(VALU_DEP_1)
	v_mad_u32 v28, v28, s27, v24
	s_cbranch_execnz .LBB10_85
	s_branch .LBB10_91
.LBB10_90:                              ;   in Loop: Header=BB10_86 Depth=4
                                        ; implicit-def: $vgpr28
.LBB10_91:                              ;   in Loop: Header=BB10_86 Depth=4
	v_add_nc_u32_e32 v28, v27, v25
	s_branch .LBB10_85
.LBB10_92:
	v_mov_b32_e32 v1, s31
	global_load_b32 v1, v1, s[10:11] scale_offset
	s_wait_loadcnt 0x0
	s_wait_xcnt 0x0
	v_subrev_nc_u32_e32 v1, s24, v1
	s_delay_alu instid0(VALU_DEP_1)
	v_cmp_ne_u32_e32 vcc_lo, s26, v1
	s_cbranch_vccnz .LBB10_137
; %bb.93:
	v_and_b32_e32 v1, 0x3ff, v0
	s_delay_alu instid0(VALU_DEP_1)
	v_cmp_gt_i32_e64 s0, s27, v1
	v_lshlrev_b32_e32 v10, 3, v1
	s_and_saveexec_b32 s2, s0
	s_cbranch_execz .LBB10_104
; %bb.94:
	s_mul_i32 s3, s31, s27
	v_bfe_u32 v6, v0, 10, 10
	v_dual_add_nc_u32 v7, s3, v1 :: v_dual_mov_b32 v9, v1
	s_cmp_lg_u32 s28, 0
	s_mov_b32 s4, 0
	s_delay_alu instid0(VALU_DEP_2) | instskip(NEXT) | instid1(VALU_DEP_2)
	v_cmp_gt_u32_e64 s1, s27, v6
	v_mul_lo_u32 v7, s27, v7
	v_mad_u32_u24 v8, 0x88, v6, v10
	s_cselect_b32 s5, -1, 0
	s_lshl_b32 s6, s27, 4
	s_branch .LBB10_96
.LBB10_95:                              ;   in Loop: Header=BB10_96 Depth=1
	s_or_b32 exec_lo, exec_lo, s7
	s_delay_alu instid0(VALU_DEP_2) | instskip(SKIP_1) | instid1(VALU_DEP_2)
	v_dual_add_nc_u32 v9, 16, v9 :: v_dual_add_nc_u32 v7, s6, v7
	v_add_nc_u32_e32 v8, 0x80, v8
	v_cmp_le_i32_e32 vcc_lo, s27, v9
	s_or_b32 s4, vcc_lo, s4
	s_delay_alu instid0(SALU_CYCLE_1)
	s_and_not1_b32 exec_lo, exec_lo, s4
	s_cbranch_execz .LBB10_104
.LBB10_96:                              ; =>This Loop Header: Depth=1
                                        ;     Child Loop BB10_99 Depth 2
	s_and_saveexec_b32 s7, s1
	s_cbranch_execz .LBB10_95
; %bb.97:                               ;   in Loop: Header=BB10_96 Depth=1
	v_dual_mov_b32 v11, v8 :: v_dual_mov_b32 v12, v6
	s_mov_b32 s8, 0
	s_branch .LBB10_99
.LBB10_98:                              ;   in Loop: Header=BB10_99 Depth=2
	global_load_b64 v[14:15], v13, s[12:13] scale_offset
	v_add_nc_u32_e32 v12, 4, v12
	s_delay_alu instid0(VALU_DEP_1)
	v_cmp_le_i32_e32 vcc_lo, s27, v12
	s_or_b32 s8, vcc_lo, s8
	s_wait_loadcnt 0x0
	ds_store_b64 v11, v[14:15]
	v_add_nc_u32_e32 v11, 0x220, v11
	s_wait_xcnt 0x0
	s_and_not1_b32 exec_lo, exec_lo, s8
	s_cbranch_execz .LBB10_95
.LBB10_99:                              ;   Parent Loop BB10_96 Depth=1
                                        ; =>  This Inner Loop Header: Depth=2
	s_and_b32 vcc_lo, exec_lo, s5
	s_cbranch_vccz .LBB10_101
; %bb.100:                              ;   in Loop: Header=BB10_99 Depth=2
	v_add_nc_u32_e32 v13, s3, v12
	s_delay_alu instid0(VALU_DEP_1)
	v_mad_u32 v13, v13, s27, v9
	s_cbranch_execnz .LBB10_98
	s_branch .LBB10_102
.LBB10_101:                             ;   in Loop: Header=BB10_99 Depth=2
                                        ; implicit-def: $vgpr13
.LBB10_102:                             ;   in Loop: Header=BB10_99 Depth=2
	v_add_nc_u32_e32 v13, v7, v12
	s_branch .LBB10_98
.LBB10_103:
	s_mov_b32 s25, -1
	s_branch .LBB10_189
.LBB10_104:
	s_or_b32 exec_lo, exec_lo, s2
	s_cmp_lt_i32 s27, 1
	s_wait_storecnt_dscnt 0x0
	s_cbranch_scc1 .LBB10_126
; %bb.105:
	v_cvt_f64_f32_e32 v[6:7], s34
	v_bfe_u32 v11, v0, 10, 10
	s_cmp_eq_u64 s[16:17], 8
	s_mov_b32 s4, 0
	s_cselect_b32 vcc_lo, -1, 0
	s_delay_alu instid0(VALU_DEP_1) | instskip(SKIP_3) | instid1(VALU_DEP_3)
	v_or_b32_e32 v8, v1, v11
	v_mul_u32_u24_e32 v9, 0x88, v11
	v_cmp_eq_u32_e64 s1, 0, v11
	v_mad_u32_u24 v12, 0x88, v11, 0x88
	v_add3_u32 v13, v9, v10, 0x90
	v_cndmask_b32_e32 v5, v7, v5, vcc_lo
	v_cmp_eq_u32_e64 s2, 0, v8
	v_cndmask_b32_e32 v4, v6, v4, vcc_lo
.LBB10_106:                             ; =>This Loop Header: Depth=1
                                        ;     Child Loop BB10_118 Depth 2
                                        ;       Child Loop BB10_122 Depth 3
	s_mul_i32 s5, s4, 0x88
	s_lshl_b32 s3, s4, 3
	s_mov_b32 s7, -1
	s_add_co_i32 s6, s5, s3
	s_and_not1_b32 vcc_lo, exec_lo, s33
	v_mov_b32_e32 v6, s6
	s_mov_b32 s3, 0
	s_wait_dscnt 0x0
	ds_load_b64 v[8:9], v6
                                        ; implicit-def: $vgpr6_vgpr7
	s_cbranch_vccz .LBB10_111
; %bb.107:                              ;   in Loop: Header=BB10_106 Depth=1
	s_and_not1_b32 vcc_lo, exec_lo, s7
	s_mov_b32 s7, 0
	s_cbranch_vccz .LBB10_114
.LBB10_108:                             ;   in Loop: Header=BB10_106 Depth=1
	s_and_not1_b32 vcc_lo, exec_lo, s3
                                        ; implicit-def: $sgpr6
	s_cbranch_vccz .LBB10_115
.LBB10_109:                             ;   in Loop: Header=BB10_106 Depth=1
	s_and_not1_b32 vcc_lo, exec_lo, s7
	s_cbranch_vccz .LBB10_124
.LBB10_110:                             ;   in Loop: Header=BB10_106 Depth=1
	v_add_nc_u32_e32 v13, 0x90, v13
	v_add_nc_u32_e32 v12, 0x90, v12
	s_cmp_eq_u32 s6, s27
	s_cbranch_scc0 .LBB10_125
	s_branch .LBB10_126
.LBB10_111:                             ;   in Loop: Header=BB10_106 Depth=1
	s_wait_dscnt 0x0
	v_cmp_ge_f64_e64 vcc_lo, v[4:5], |v[8:9]|
	v_dual_cndmask_b32 v7, v9, v3 :: v_dual_cndmask_b32 v6, v8, v2
	s_and_saveexec_b32 s3, s2
; %bb.112:                              ;   in Loop: Header=BB10_106 Depth=1
	v_mov_b32_e32 v14, s6
	ds_store_b64 v14, v[6:7]
; %bb.113:                              ;   in Loop: Header=BB10_106 Depth=1
	s_or_b32 exec_lo, exec_lo, s3
	s_mov_b32 s3, -1
	s_mov_b32 s7, 0
	s_cbranch_execnz .LBB10_108
.LBB10_114:                             ;   in Loop: Header=BB10_106 Depth=1
	s_wait_dscnt 0x0
	v_cmp_neq_f64_e64 s3, 0, v[8:9]
	v_mov_b64_e32 v[6:7], v[8:9]
	s_mov_b32 s7, -1
	s_and_not1_b32 vcc_lo, exec_lo, s3
                                        ; implicit-def: $sgpr6
	s_cbranch_vccnz .LBB10_109
.LBB10_115:                             ;   in Loop: Header=BB10_106 Depth=1
	s_add_co_i32 s6, s4, 1
	s_mov_b32 s7, exec_lo
	v_add_nc_u32_e32 v14, s6, v1
	s_delay_alu instid0(VALU_DEP_1)
	v_cmpx_gt_i32_e64 s27, v14
	s_cbranch_execz .LBB10_123
; %bb.116:                              ;   in Loop: Header=BB10_106 Depth=1
	v_dual_mov_b32 v16, v13 :: v_dual_add_nc_u32 v15, s6, v11
	s_mov_b32 s8, 0
	s_delay_alu instid0(VALU_DEP_1)
	v_cmp_gt_i32_e64 s3, s27, v15
	s_branch .LBB10_118
.LBB10_117:                             ;   in Loop: Header=BB10_118 Depth=2
	s_or_b32 exec_lo, exec_lo, s9
	v_add_nc_u32_e32 v14, 16, v14
	v_add_nc_u32_e32 v16, 0x80, v16
	s_delay_alu instid0(VALU_DEP_2) | instskip(SKIP_1) | instid1(SALU_CYCLE_1)
	v_cmp_le_i32_e32 vcc_lo, s27, v14
	s_or_b32 s8, vcc_lo, s8
	s_and_not1_b32 exec_lo, exec_lo, s8
	s_cbranch_execz .LBB10_123
.LBB10_118:                             ;   Parent Loop BB10_106 Depth=1
                                        ; =>  This Loop Header: Depth=2
                                        ;       Child Loop BB10_122 Depth 3
	v_lshl_add_u32 v17, v14, 3, s5
	s_wait_dscnt 0x0
	ds_load_b64 v[8:9], v17
	s_wait_dscnt 0x0
	v_div_scale_f64 v[18:19], null, v[6:7], v[6:7], v[8:9]
	s_delay_alu instid0(VALU_DEP_1) | instskip(SKIP_1) | instid1(TRANS32_DEP_1)
	v_rcp_f64_e32 v[20:21], v[18:19]
	v_nop
	v_fma_f64 v[22:23], -v[18:19], v[20:21], 1.0
	s_delay_alu instid0(VALU_DEP_1) | instskip(NEXT) | instid1(VALU_DEP_1)
	v_fmac_f64_e32 v[20:21], v[20:21], v[22:23]
	v_fma_f64 v[22:23], -v[18:19], v[20:21], 1.0
	s_delay_alu instid0(VALU_DEP_1) | instskip(SKIP_1) | instid1(VALU_DEP_1)
	v_fmac_f64_e32 v[20:21], v[20:21], v[22:23]
	v_div_scale_f64 v[22:23], vcc_lo, v[8:9], v[6:7], v[8:9]
	v_mul_f64_e32 v[24:25], v[22:23], v[20:21]
	s_delay_alu instid0(VALU_DEP_1) | instskip(NEXT) | instid1(VALU_DEP_1)
	v_fma_f64 v[18:19], -v[18:19], v[24:25], v[22:23]
	v_div_fmas_f64 v[18:19], v[18:19], v[20:21], v[24:25]
	s_delay_alu instid0(VALU_DEP_1)
	v_div_fixup_f64 v[8:9], v[18:19], v[6:7], v[8:9]
	s_and_saveexec_b32 s9, s1
; %bb.119:                              ;   in Loop: Header=BB10_118 Depth=2
	ds_store_b64 v17, v[8:9]
; %bb.120:                              ;   in Loop: Header=BB10_118 Depth=2
	s_or_b32 exec_lo, exec_lo, s9
	s_and_saveexec_b32 s9, s3
	s_cbranch_execz .LBB10_117
; %bb.121:                              ;   in Loop: Header=BB10_118 Depth=2
	v_dual_mov_b32 v17, v12 :: v_dual_mov_b32 v18, v16
	v_mov_b32_e32 v19, v15
	s_mov_b32 s10, 0
.LBB10_122:                             ;   Parent Loop BB10_106 Depth=1
                                        ;     Parent Loop BB10_118 Depth=2
                                        ; =>    This Inner Loop Header: Depth=3
	ds_load_b64 v[20:21], v17
	ds_load_b64 v[22:23], v18
	v_add_nc_u32_e32 v17, 0x220, v17
	v_add_nc_u32_e32 v19, 4, v19
	s_delay_alu instid0(VALU_DEP_1)
	v_cmp_le_i32_e32 vcc_lo, s27, v19
	s_or_b32 s10, vcc_lo, s10
	s_wait_dscnt 0x0
	v_fma_f64 v[20:21], -v[8:9], v[20:21], v[22:23]
	ds_store_b64 v18, v[20:21]
	v_add_nc_u32_e32 v18, 0x220, v18
	s_and_not1_b32 exec_lo, exec_lo, s10
	s_cbranch_execnz .LBB10_122
	s_branch .LBB10_117
.LBB10_123:                             ;   in Loop: Header=BB10_106 Depth=1
	s_or_b32 exec_lo, exec_lo, s7
	s_cbranch_execnz .LBB10_110
.LBB10_124:                             ;   in Loop: Header=BB10_106 Depth=1
	s_add_co_i32 s6, s4, 1
	s_mov_b32 s25, -1
	v_add_nc_u32_e32 v13, 0x90, v13
	v_add_nc_u32_e32 v12, 0x90, v12
	s_cmp_eq_u32 s6, s27
	s_cbranch_scc1 .LBB10_126
.LBB10_125:                             ;   in Loop: Header=BB10_106 Depth=1
	s_mov_b32 s4, s6
	s_branch .LBB10_106
.LBB10_126:
	s_wait_dscnt 0x0
	s_and_saveexec_b32 s1, s0
	s_cbranch_execz .LBB10_136
; %bb.127:
	s_mul_i32 s2, s31, s27
	v_bfe_u32 v4, v0, 10, 10
	v_add_nc_u32_e32 v2, s2, v1
	s_cmp_lg_u32 s28, 0
	s_mov_b32 s3, 0
	s_cselect_b32 s4, -1, 0
	v_cmp_gt_u32_e64 s0, s27, v4
	v_mul_lo_u32 v5, s27, v2
	v_mad_u32_u24 v6, 0x88, v4, v10
	s_lshl_b32 s5, s27, 4
	s_branch .LBB10_129
.LBB10_128:                             ;   in Loop: Header=BB10_129 Depth=1
	s_or_b32 exec_lo, exec_lo, s6
	v_add_nc_u32_e32 v1, 16, v1
	s_delay_alu instid0(VALU_DEP_3) | instskip(SKIP_1) | instid1(VALU_DEP_3)
	v_add_nc_u32_e32 v5, s5, v5
	v_add_nc_u32_e32 v6, 0x80, v6
	v_cmp_le_i32_e32 vcc_lo, s27, v1
	s_or_b32 s3, vcc_lo, s3
	s_delay_alu instid0(SALU_CYCLE_1)
	s_and_not1_b32 exec_lo, exec_lo, s3
	s_cbranch_execz .LBB10_136
.LBB10_129:                             ; =>This Loop Header: Depth=1
                                        ;     Child Loop BB10_132 Depth 2
	s_and_saveexec_b32 s6, s0
	s_cbranch_execz .LBB10_128
; %bb.130:                              ;   in Loop: Header=BB10_129 Depth=1
	v_dual_mov_b32 v7, v6 :: v_dual_mov_b32 v8, v4
	s_mov_b32 s7, 0
	s_branch .LBB10_132
.LBB10_131:                             ;   in Loop: Header=BB10_132 Depth=2
	v_add_nc_u32_e32 v8, 4, v8
	v_add_nc_u32_e32 v7, 0x220, v7
	s_wait_dscnt 0x0
	global_store_b64 v9, v[2:3], s[12:13] scale_offset
	v_cmp_le_i32_e32 vcc_lo, s27, v8
	s_or_b32 s7, vcc_lo, s7
	s_wait_xcnt 0x0
	s_and_not1_b32 exec_lo, exec_lo, s7
	s_cbranch_execz .LBB10_128
.LBB10_132:                             ;   Parent Loop BB10_129 Depth=1
                                        ; =>  This Inner Loop Header: Depth=2
	ds_load_b64 v[2:3], v7
	s_and_b32 vcc_lo, exec_lo, s4
	s_cbranch_vccz .LBB10_134
; %bb.133:                              ;   in Loop: Header=BB10_132 Depth=2
	v_add_nc_u32_e32 v9, s2, v8
	s_delay_alu instid0(VALU_DEP_1)
	v_mad_u32 v9, v9, s27, v1
	s_cbranch_execnz .LBB10_131
	s_branch .LBB10_135
.LBB10_134:                             ;   in Loop: Header=BB10_132 Depth=2
                                        ; implicit-def: $vgpr9
.LBB10_135:                             ;   in Loop: Header=BB10_132 Depth=2
	v_add_nc_u32_e32 v9, v5, v8
	s_branch .LBB10_131
.LBB10_136:
	s_or_b32 exec_lo, exec_lo, s1
.LBB10_137:
	s_add_co_i32 s4, s31, 1
	s_delay_alu instid0(SALU_CYCLE_1)
	s_cmp_ge_i32 s4, s30
	s_cbranch_scc1 .LBB10_189
; %bb.138:
	v_and_b32_e32 v1, 0x3ff, v0
	s_wait_dscnt 0x0
	v_bfe_u32 v4, v0, 10, 10
	s_cmp_lg_u32 s28, 0
	s_movk_i32 s3, 0x888
	s_cselect_b32 s5, -1, 0
	v_mad_u32 v2, s27, s4, v1
	v_dual_add_nc_u32 v5, 1, v4 :: v_dual_lshlrev_b32 v3, 3, v4
	s_cmp_gt_i32 s27, 0
	v_mul_u32_u24_e32 v7, 0x88, v4
	s_cselect_b32 s6, -1, 0
	s_cmp_lg_u32 s27, 1
	v_dual_lshlrev_b32 v8, 3, v1 :: v_dual_add_nc_u32 v9, 8, v3
	v_mad_u32_u24 v11, 0x88, v1, v3
	s_cselect_b32 s7, -1, 0
	s_and_b32 s8, s27, 0x7ffffffe
	s_bitcmp1_b32 s27, 0
	v_cmp_gt_i32_e64 s0, s27, v1
	v_cmp_le_i32_e64 s1, s27, v1
	v_cmp_gt_i32_e64 s2, s27, v4
	v_mul_lo_u32 v6, s27, v2
	v_add3_u32 v7, v7, v8, 0x880
	v_add_nc_u32_e32 v8, 0x888, v11
	v_add_nc_u32_e32 v10, 0x98, v3
	;; [unrolled: 1-line block ×3, first 2 shown]
	v_mad_u32_u24 v12, 0x88, v1, s3
	s_cselect_b32 s9, -1, 0
	s_mul_i32 s10, s27, s27
	s_lshl_b32 s11, s27, 4
	s_branch .LBB10_141
.LBB10_139:                             ;   in Loop: Header=BB10_141 Depth=1
	s_or_b32 exec_lo, exec_lo, s14
.LBB10_140:                             ;   in Loop: Header=BB10_141 Depth=1
	s_delay_alu instid0(SALU_CYCLE_1) | instskip(SKIP_2) | instid1(SALU_CYCLE_1)
	s_or_b32 exec_lo, exec_lo, s3
	v_add_nc_u32_e32 v6, s10, v6
	s_add_co_i32 s4, s4, 1
	s_cmp_ge_i32 s4, s30
	s_cbranch_scc1 .LBB10_189
.LBB10_141:                             ; =>This Loop Header: Depth=1
                                        ;     Child Loop BB10_144 Depth 2
                                        ;       Child Loop BB10_147 Depth 3
                                        ;     Child Loop BB10_155 Depth 2
                                        ;       Child Loop BB10_158 Depth 3
                                        ;         Child Loop BB10_160 Depth 4
                                        ;       Child Loop BB10_163 Depth 3
                                        ;         Child Loop BB10_165 Depth 4
                                        ;     Child Loop BB10_172 Depth 2
                                        ;       Child Loop BB10_174 Depth 3
                                        ;     Child Loop BB10_182 Depth 2
                                        ;       Child Loop BB10_185 Depth 3
	s_wait_storecnt 0x0
	s_and_saveexec_b32 s3, s0
	s_cbranch_execz .LBB10_151
; %bb.142:                              ;   in Loop: Header=BB10_141 Depth=1
	v_dual_mov_b32 v2, v7 :: v_dual_mov_b32 v3, v6
	v_mov_b32_e32 v13, v1
	s_mul_i32 s14, s4, s27
	s_mov_b32 s15, 0
	s_branch .LBB10_144
.LBB10_143:                             ;   in Loop: Header=BB10_144 Depth=2
	s_or_b32 exec_lo, exec_lo, s16
	v_dual_add_nc_u32 v13, 16, v13 :: v_dual_add_nc_u32 v3, s11, v3
	v_add_nc_u32_e32 v2, 0x80, v2
	s_delay_alu instid0(VALU_DEP_2) | instskip(SKIP_1) | instid1(SALU_CYCLE_1)
	v_cmp_le_i32_e32 vcc_lo, s27, v13
	s_or_b32 s15, vcc_lo, s15
	s_and_not1_b32 exec_lo, exec_lo, s15
	s_cbranch_execz .LBB10_151
.LBB10_144:                             ;   Parent Loop BB10_141 Depth=1
                                        ; =>  This Loop Header: Depth=2
                                        ;       Child Loop BB10_147 Depth 3
	s_and_saveexec_b32 s16, s2
	s_cbranch_execz .LBB10_143
; %bb.145:                              ;   in Loop: Header=BB10_144 Depth=2
	v_dual_mov_b32 v14, v2 :: v_dual_mov_b32 v15, v4
	s_mov_b32 s17, 0
	s_branch .LBB10_147
.LBB10_146:                             ;   in Loop: Header=BB10_147 Depth=3
	global_load_b64 v[16:17], v16, s[12:13] scale_offset
	v_add_nc_u32_e32 v15, 4, v15
	s_delay_alu instid0(VALU_DEP_1)
	v_cmp_le_i32_e32 vcc_lo, s27, v15
	s_or_b32 s17, vcc_lo, s17
	s_wait_loadcnt 0x0
	ds_store_b64 v14, v[16:17]
	v_add_nc_u32_e32 v14, 0x220, v14
	s_wait_xcnt 0x0
	s_and_not1_b32 exec_lo, exec_lo, s17
	s_cbranch_execz .LBB10_143
.LBB10_147:                             ;   Parent Loop BB10_141 Depth=1
                                        ;     Parent Loop BB10_144 Depth=2
                                        ; =>    This Inner Loop Header: Depth=3
	s_and_b32 vcc_lo, exec_lo, s5
	s_cbranch_vccz .LBB10_149
; %bb.148:                              ;   in Loop: Header=BB10_147 Depth=3
	v_add_nc_u32_e32 v16, s14, v15
	s_delay_alu instid0(VALU_DEP_1)
	v_mad_u32 v16, v16, s27, v13
	s_cbranch_execnz .LBB10_146
	s_branch .LBB10_150
.LBB10_149:                             ;   in Loop: Header=BB10_147 Depth=3
                                        ; implicit-def: $vgpr16
.LBB10_150:                             ;   in Loop: Header=BB10_147 Depth=3
	v_add_nc_u32_e32 v16, v3, v15
	s_branch .LBB10_146
.LBB10_151:                             ;   in Loop: Header=BB10_141 Depth=1
	s_or_b32 exec_lo, exec_lo, s3
	s_delay_alu instid0(SALU_CYCLE_1)
	s_and_not1_b32 vcc_lo, exec_lo, s6
	s_wait_dscnt 0x0
	s_cbranch_vccnz .LBB10_175
; %bb.152:                              ;   in Loop: Header=BB10_141 Depth=1
	s_and_not1_b32 vcc_lo, exec_lo, s7
	s_mov_b32 s3, 0
	s_cbranch_vccnz .LBB10_166
; %bb.153:                              ;   in Loop: Header=BB10_141 Depth=1
	v_dual_mov_b32 v2, v11 :: v_dual_mov_b32 v3, v10
	v_dual_mov_b32 v13, v9 :: v_dual_mov_b32 v14, v8
	s_mov_b32 s14, 0
	s_branch .LBB10_155
.LBB10_154:                             ;   in Loop: Header=BB10_155 Depth=2
	s_or_b32 exec_lo, exec_lo, s15
	v_add_nc_u32_e32 v14, 16, v14
	v_add_nc_u32_e32 v13, 0x120, v13
	;; [unrolled: 1-line block ×4, first 2 shown]
	s_add_co_i32 s14, s14, 2
	s_mov_b32 s3, s8
	s_cmp_eq_u32 s14, s8
	s_cbranch_scc1 .LBB10_166
.LBB10_155:                             ;   Parent Loop BB10_141 Depth=1
                                        ; =>  This Loop Header: Depth=2
                                        ;       Child Loop BB10_158 Depth 3
                                        ;         Child Loop BB10_160 Depth 4
                                        ;       Child Loop BB10_163 Depth 3
                                        ;         Child Loop BB10_165 Depth 4
	s_and_saveexec_b32 s15, s0
	s_cbranch_execz .LBB10_154
; %bb.156:                              ;   in Loop: Header=BB10_155 Depth=2
	v_dual_mov_b32 v16, v14 :: v_dual_add_nc_u32 v15, s14, v5
	v_mov_b32_e32 v17, v1
	s_lshl_b32 s16, s14, 3
	s_mov_b32 s17, 0
	s_addk_co_i32 s16, 0x880
	v_cmp_gt_i32_e32 vcc_lo, s27, v15
	s_branch .LBB10_158
.LBB10_157:                             ;   in Loop: Header=BB10_158 Depth=3
	s_or_b32 exec_lo, exec_lo, s28
	v_add_nc_u32_e32 v17, 16, v17
	v_add_nc_u32_e32 v16, 0x880, v16
	s_delay_alu instid0(VALU_DEP_2) | instskip(SKIP_1) | instid1(SALU_CYCLE_1)
	v_cmp_le_i32_e64 s3, s27, v17
	s_or_b32 s17, s3, s17
	s_and_not1_b32 exec_lo, exec_lo, s17
	s_cbranch_execz .LBB10_161
.LBB10_158:                             ;   Parent Loop BB10_141 Depth=1
                                        ;     Parent Loop BB10_155 Depth=2
                                        ; =>    This Loop Header: Depth=3
                                        ;         Child Loop BB10_160 Depth 4
	s_and_saveexec_b32 s28, vcc_lo
	s_cbranch_execz .LBB10_157
; %bb.159:                              ;   in Loop: Header=BB10_158 Depth=3
	v_mad_u32 v18, 0x88, v17, s16
	v_dual_mov_b32 v19, v13 :: v_dual_mov_b32 v20, v16
	v_mov_b32_e32 v21, v15
	s_mov_b32 s29, 0
.LBB10_160:                             ;   Parent Loop BB10_141 Depth=1
                                        ;     Parent Loop BB10_155 Depth=2
                                        ;       Parent Loop BB10_158 Depth=3
                                        ; =>      This Inner Loop Header: Depth=4
	ds_load_b64 v[22:23], v19
	ds_load_b64 v[24:25], v18
	;; [unrolled: 1-line block ×3, first 2 shown]
	v_dual_add_nc_u32 v21, 4, v21 :: v_dual_add_nc_u32 v19, 32, v19
	s_wait_dscnt 0x0
	v_fma_f64 v[22:23], -v[22:23], v[24:25], v[26:27]
	ds_store_b64 v20, v[22:23]
	v_add_nc_u32_e32 v20, 32, v20
	v_cmp_le_i32_e64 s3, s27, v21
	s_or_b32 s29, s3, s29
	s_delay_alu instid0(SALU_CYCLE_1)
	s_and_not1_b32 exec_lo, exec_lo, s29
	s_cbranch_execnz .LBB10_160
	s_branch .LBB10_157
.LBB10_161:                             ;   in Loop: Header=BB10_155 Depth=2
	s_or_b32 exec_lo, exec_lo, s17
	v_add3_u32 v15, v5, s14, 1
	v_dual_mov_b32 v16, v2 :: v_dual_mov_b32 v17, v1
	s_mov_b32 s17, 0
	s_delay_alu instid0(VALU_DEP_2)
	v_cmp_gt_i32_e32 vcc_lo, s27, v15
	s_branch .LBB10_163
.LBB10_162:                             ;   in Loop: Header=BB10_163 Depth=3
	s_or_b32 exec_lo, exec_lo, s28
	v_add_nc_u32_e32 v17, 16, v17
	v_add_nc_u32_e32 v16, 0x880, v16
	s_delay_alu instid0(VALU_DEP_2) | instskip(SKIP_1) | instid1(SALU_CYCLE_1)
	v_cmp_le_i32_e64 s3, s27, v17
	s_or_b32 s17, s3, s17
	s_and_not1_b32 exec_lo, exec_lo, s17
	s_cbranch_execz .LBB10_154
.LBB10_163:                             ;   Parent Loop BB10_141 Depth=1
                                        ;     Parent Loop BB10_155 Depth=2
                                        ; =>    This Loop Header: Depth=3
                                        ;         Child Loop BB10_165 Depth 4
	s_and_saveexec_b32 s28, vcc_lo
	s_cbranch_execz .LBB10_162
; %bb.164:                              ;   in Loop: Header=BB10_163 Depth=3
	v_mad_u32 v18, 0x88, v17, s16
	v_dual_mov_b32 v19, v16 :: v_dual_mov_b32 v20, v3
	v_mov_b32_e32 v21, v15
	s_mov_b32 s29, 0
.LBB10_165:                             ;   Parent Loop BB10_141 Depth=1
                                        ;     Parent Loop BB10_155 Depth=2
                                        ;       Parent Loop BB10_163 Depth=3
                                        ; =>      This Inner Loop Header: Depth=4
	ds_load_b64 v[22:23], v20
	ds_load_b64 v[24:25], v18 offset:8
	ds_load_b64 v[26:27], v19
	v_dual_add_nc_u32 v21, 4, v21 :: v_dual_add_nc_u32 v20, 32, v20
	s_delay_alu instid0(VALU_DEP_1)
	v_cmp_le_i32_e64 s3, s27, v21
	s_or_b32 s29, s3, s29
	s_wait_dscnt 0x0
	v_fma_f64 v[22:23], -v[22:23], v[24:25], v[26:27]
	ds_store_b64 v19, v[22:23]
	v_add_nc_u32_e32 v19, 32, v19
	s_and_not1_b32 exec_lo, exec_lo, s29
	s_cbranch_execnz .LBB10_165
	s_branch .LBB10_162
.LBB10_166:                             ;   in Loop: Header=BB10_141 Depth=1
	s_and_not1_b32 vcc_lo, exec_lo, s9
	s_mov_b32 s15, -1
	s_cbranch_vccnz .LBB10_176
; %bb.167:                              ;   in Loop: Header=BB10_141 Depth=1
	s_and_saveexec_b32 s14, s1
	s_delay_alu instid0(SALU_CYCLE_1)
	s_xor_b32 s14, exec_lo, s14
	s_cbranch_execz .LBB10_169
; %bb.168:                              ;   in Loop: Header=BB10_141 Depth=1
	s_wait_dscnt 0x0
.LBB10_169:                             ;   in Loop: Header=BB10_141 Depth=1
	s_or_saveexec_b32 s14, s14
	s_mov_b32 s15, 0
	s_xor_b32 exec_lo, exec_lo, s14
	s_cbranch_execz .LBB10_178
; %bb.170:                              ;   in Loop: Header=BB10_141 Depth=1
	v_mad_u32 v3, 0x90, s3, v9
	v_dual_add_nc_u32 v2, s3, v5 :: v_dual_add_nc_u32 v13, s3, v4
	v_mov_b32_e32 v14, v1
	s_lshl_b32 s16, s3, 3
	s_delay_alu instid0(SALU_CYCLE_1) | instskip(NEXT) | instid1(VALU_DEP_2)
	s_addk_co_i32 s16, 0x880
	v_lshl_add_u32 v13, v13, 3, v12
	v_cmp_gt_i32_e32 vcc_lo, s27, v2
	s_branch .LBB10_172
.LBB10_171:                             ;   in Loop: Header=BB10_172 Depth=2
	s_or_b32 exec_lo, exec_lo, s17
	v_add_nc_u32_e32 v14, 16, v14
	v_add_nc_u32_e32 v13, 0x880, v13
	s_delay_alu instid0(VALU_DEP_2) | instskip(SKIP_1) | instid1(SALU_CYCLE_1)
	v_cmp_le_i32_e64 s3, s27, v14
	s_or_b32 s15, s3, s15
	s_and_not1_b32 exec_lo, exec_lo, s15
	s_cbranch_execz .LBB10_177
.LBB10_172:                             ;   Parent Loop BB10_141 Depth=1
                                        ; =>  This Loop Header: Depth=2
                                        ;       Child Loop BB10_174 Depth 3
	s_and_saveexec_b32 s17, vcc_lo
	s_cbranch_execz .LBB10_171
; %bb.173:                              ;   in Loop: Header=BB10_172 Depth=2
	v_mad_u32 v15, 0x88, v14, s16
	v_dual_mov_b32 v16, v3 :: v_dual_mov_b32 v17, v13
	v_mov_b32_e32 v18, v2
	s_mov_b32 s28, 0
.LBB10_174:                             ;   Parent Loop BB10_141 Depth=1
                                        ;     Parent Loop BB10_172 Depth=2
                                        ; =>    This Inner Loop Header: Depth=3
	ds_load_b64 v[20:21], v16
	ds_load_b64 v[22:23], v15
	;; [unrolled: 1-line block ×3, first 2 shown]
	v_dual_add_nc_u32 v18, 4, v18 :: v_dual_add_nc_u32 v16, 32, v16
	s_delay_alu instid0(VALU_DEP_1)
	v_cmp_le_i32_e64 s3, s27, v18
	s_or_b32 s28, s3, s28
	s_wait_dscnt 0x0
	v_fma_f64 v[20:21], -v[20:21], v[22:23], v[24:25]
	ds_store_b64 v17, v[20:21]
	v_add_nc_u32_e32 v17, 32, v17
	s_and_not1_b32 exec_lo, exec_lo, s28
	s_cbranch_execnz .LBB10_174
	s_branch .LBB10_171
.LBB10_175:                             ;   in Loop: Header=BB10_141 Depth=1
	s_mov_b32 s15, -1
.LBB10_176:                             ;   in Loop: Header=BB10_141 Depth=1
	s_delay_alu instid0(SALU_CYCLE_1) | instskip(NEXT) | instid1(SALU_CYCLE_1)
	s_and_saveexec_b32 s3, s15
	s_xor_b32 s3, exec_lo, s3
	s_cbranch_execz .LBB10_140
	s_branch .LBB10_179
.LBB10_177:                             ;   in Loop: Header=BB10_141 Depth=1
	s_or_b32 exec_lo, exec_lo, s15
	s_delay_alu instid0(SALU_CYCLE_1)
	s_mov_b32 s15, exec_lo
.LBB10_178:                             ;   in Loop: Header=BB10_141 Depth=1
	s_or_b32 exec_lo, exec_lo, s14
	s_and_saveexec_b32 s3, s15
	s_delay_alu instid0(SALU_CYCLE_1)
	s_xor_b32 s3, exec_lo, s3
	s_cbranch_execz .LBB10_140
.LBB10_179:                             ;   in Loop: Header=BB10_141 Depth=1
	s_wait_dscnt 0x0
	s_and_saveexec_b32 s14, s0
	s_cbranch_execz .LBB10_139
; %bb.180:                              ;   in Loop: Header=BB10_141 Depth=1
	v_dual_mov_b32 v13, v7 :: v_dual_mov_b32 v14, v6
	v_mov_b32_e32 v15, v1
	s_mul_i32 s15, s4, s27
	s_mov_b32 s16, 0
	s_branch .LBB10_182
.LBB10_181:                             ;   in Loop: Header=BB10_182 Depth=2
	s_or_b32 exec_lo, exec_lo, s17
	v_dual_add_nc_u32 v15, 16, v15 :: v_dual_add_nc_u32 v14, s11, v14
	v_add_nc_u32_e32 v13, 0x80, v13
	s_delay_alu instid0(VALU_DEP_2) | instskip(SKIP_1) | instid1(SALU_CYCLE_1)
	v_cmp_le_i32_e32 vcc_lo, s27, v15
	s_or_b32 s16, vcc_lo, s16
	s_and_not1_b32 exec_lo, exec_lo, s16
	s_cbranch_execz .LBB10_139
.LBB10_182:                             ;   Parent Loop BB10_141 Depth=1
                                        ; =>  This Loop Header: Depth=2
                                        ;       Child Loop BB10_185 Depth 3
	s_and_saveexec_b32 s17, s2
	s_cbranch_execz .LBB10_181
; %bb.183:                              ;   in Loop: Header=BB10_182 Depth=2
	v_dual_mov_b32 v16, v13 :: v_dual_mov_b32 v17, v4
	s_mov_b32 s28, 0
	s_branch .LBB10_185
.LBB10_184:                             ;   in Loop: Header=BB10_185 Depth=3
	v_add_nc_u32_e32 v17, 4, v17
	v_add_nc_u32_e32 v16, 0x220, v16
	s_wait_dscnt 0x0
	global_store_b64 v18, v[2:3], s[12:13] scale_offset
	v_cmp_le_i32_e32 vcc_lo, s27, v17
	s_or_b32 s28, vcc_lo, s28
	s_wait_xcnt 0x0
	s_and_not1_b32 exec_lo, exec_lo, s28
	s_cbranch_execz .LBB10_181
.LBB10_185:                             ;   Parent Loop BB10_141 Depth=1
                                        ;     Parent Loop BB10_182 Depth=2
                                        ; =>    This Inner Loop Header: Depth=3
	ds_load_b64 v[2:3], v16
	s_and_b32 vcc_lo, exec_lo, s5
	s_cbranch_vccz .LBB10_187
; %bb.186:                              ;   in Loop: Header=BB10_185 Depth=3
	v_add_nc_u32_e32 v18, s15, v17
	s_delay_alu instid0(VALU_DEP_1)
	v_mad_u32 v18, v18, s27, v15
	s_cbranch_execnz .LBB10_184
	s_branch .LBB10_188
.LBB10_187:                             ;   in Loop: Header=BB10_185 Depth=3
                                        ; implicit-def: $vgpr18
.LBB10_188:                             ;   in Loop: Header=BB10_185 Depth=3
	v_add_nc_u32_e32 v18, v14, v17
	s_branch .LBB10_184
.LBB10_189:
	v_and_b32_e32 v0, 0xfffff, v0
	s_mov_b32 s0, exec_lo
	s_delay_alu instid0(VALU_DEP_1)
	v_cmpx_eq_u32_e32 0, v0
	s_cbranch_execz .LBB10_193
; %bb.190:
	v_dual_mov_b32 v0, 0 :: v_dual_mov_b32 v1, 1
	s_add_nc_u64 s[0:1], s[20:21], s[22:23]
	s_and_not1_b32 vcc_lo, exec_lo, s25
	global_wb scope:SCOPE_DEV
	s_wait_storecnt 0x0
	s_wait_loadcnt_dscnt 0x0
	global_store_b32 v0, v1, s[0:1] scope:SCOPE_DEV
	s_cbranch_vccnz .LBB10_193
; %bb.191:
	s_wait_xcnt 0x0
	v_mbcnt_lo_u32_b32 v0, exec_lo, 0
	s_delay_alu instid0(VALU_DEP_1)
	v_cmp_eq_u32_e32 vcc_lo, 0, v0
	s_and_b32 exec_lo, exec_lo, vcc_lo
	s_cbranch_execz .LBB10_193
; %bb.192:
	s_add_co_i32 s0, s26, s24
	s_delay_alu instid0(SALU_CYCLE_1)
	v_dual_mov_b32 v0, 0 :: v_dual_mov_b32 v1, s0
	global_atomic_min_i32 v0, v1, s[18:19] scope:SCOPE_DEV
.LBB10_193:
	s_endpgm
	.section	.rodata,"a",@progbits
	.p2align	6, 0x0
	.amdhsa_kernel _ZN9rocsparseL12bsrilu0_9_32ILj64ELj64ELj16EdEEv20rocsparse_direction_iPKiS3_PT2_S3_iPiS3_S6_21rocsparse_index_base_imNS_24const_host_device_scalarIfEENS8_IdEENS8_IS4_EEb
		.amdhsa_group_segment_fixed_size 4352
		.amdhsa_private_segment_fixed_size 0
		.amdhsa_kernarg_size 116
		.amdhsa_user_sgpr_count 2
		.amdhsa_user_sgpr_dispatch_ptr 0
		.amdhsa_user_sgpr_queue_ptr 0
		.amdhsa_user_sgpr_kernarg_segment_ptr 1
		.amdhsa_user_sgpr_dispatch_id 0
		.amdhsa_user_sgpr_kernarg_preload_length 0
		.amdhsa_user_sgpr_kernarg_preload_offset 0
		.amdhsa_user_sgpr_private_segment_size 0
		.amdhsa_wavefront_size32 1
		.amdhsa_uses_dynamic_stack 0
		.amdhsa_enable_private_segment 0
		.amdhsa_system_sgpr_workgroup_id_x 1
		.amdhsa_system_sgpr_workgroup_id_y 0
		.amdhsa_system_sgpr_workgroup_id_z 0
		.amdhsa_system_sgpr_workgroup_info 0
		.amdhsa_system_vgpr_workitem_id 1
		.amdhsa_next_free_vgpr 38
		.amdhsa_next_free_sgpr 47
		.amdhsa_named_barrier_count 0
		.amdhsa_reserve_vcc 1
		.amdhsa_float_round_mode_32 0
		.amdhsa_float_round_mode_16_64 0
		.amdhsa_float_denorm_mode_32 3
		.amdhsa_float_denorm_mode_16_64 3
		.amdhsa_fp16_overflow 0
		.amdhsa_memory_ordered 1
		.amdhsa_forward_progress 1
		.amdhsa_inst_pref_size 44
		.amdhsa_round_robin_scheduling 0
		.amdhsa_exception_fp_ieee_invalid_op 0
		.amdhsa_exception_fp_denorm_src 0
		.amdhsa_exception_fp_ieee_div_zero 0
		.amdhsa_exception_fp_ieee_overflow 0
		.amdhsa_exception_fp_ieee_underflow 0
		.amdhsa_exception_fp_ieee_inexact 0
		.amdhsa_exception_int_div_zero 0
	.end_amdhsa_kernel
	.section	.text._ZN9rocsparseL12bsrilu0_9_32ILj64ELj64ELj16EdEEv20rocsparse_direction_iPKiS3_PT2_S3_iPiS3_S6_21rocsparse_index_base_imNS_24const_host_device_scalarIfEENS8_IdEENS8_IS4_EEb,"axG",@progbits,_ZN9rocsparseL12bsrilu0_9_32ILj64ELj64ELj16EdEEv20rocsparse_direction_iPKiS3_PT2_S3_iPiS3_S6_21rocsparse_index_base_imNS_24const_host_device_scalarIfEENS8_IdEENS8_IS4_EEb,comdat
.Lfunc_end10:
	.size	_ZN9rocsparseL12bsrilu0_9_32ILj64ELj64ELj16EdEEv20rocsparse_direction_iPKiS3_PT2_S3_iPiS3_S6_21rocsparse_index_base_imNS_24const_host_device_scalarIfEENS8_IdEENS8_IS4_EEb, .Lfunc_end10-_ZN9rocsparseL12bsrilu0_9_32ILj64ELj64ELj16EdEEv20rocsparse_direction_iPKiS3_PT2_S3_iPiS3_S6_21rocsparse_index_base_imNS_24const_host_device_scalarIfEENS8_IdEENS8_IS4_EEb
                                        ; -- End function
	.set _ZN9rocsparseL12bsrilu0_9_32ILj64ELj64ELj16EdEEv20rocsparse_direction_iPKiS3_PT2_S3_iPiS3_S6_21rocsparse_index_base_imNS_24const_host_device_scalarIfEENS8_IdEENS8_IS4_EEb.num_vgpr, 38
	.set _ZN9rocsparseL12bsrilu0_9_32ILj64ELj64ELj16EdEEv20rocsparse_direction_iPKiS3_PT2_S3_iPiS3_S6_21rocsparse_index_base_imNS_24const_host_device_scalarIfEENS8_IdEENS8_IS4_EEb.num_agpr, 0
	.set _ZN9rocsparseL12bsrilu0_9_32ILj64ELj64ELj16EdEEv20rocsparse_direction_iPKiS3_PT2_S3_iPiS3_S6_21rocsparse_index_base_imNS_24const_host_device_scalarIfEENS8_IdEENS8_IS4_EEb.numbered_sgpr, 47
	.set _ZN9rocsparseL12bsrilu0_9_32ILj64ELj64ELj16EdEEv20rocsparse_direction_iPKiS3_PT2_S3_iPiS3_S6_21rocsparse_index_base_imNS_24const_host_device_scalarIfEENS8_IdEENS8_IS4_EEb.num_named_barrier, 0
	.set _ZN9rocsparseL12bsrilu0_9_32ILj64ELj64ELj16EdEEv20rocsparse_direction_iPKiS3_PT2_S3_iPiS3_S6_21rocsparse_index_base_imNS_24const_host_device_scalarIfEENS8_IdEENS8_IS4_EEb.private_seg_size, 0
	.set _ZN9rocsparseL12bsrilu0_9_32ILj64ELj64ELj16EdEEv20rocsparse_direction_iPKiS3_PT2_S3_iPiS3_S6_21rocsparse_index_base_imNS_24const_host_device_scalarIfEENS8_IdEENS8_IS4_EEb.uses_vcc, 1
	.set _ZN9rocsparseL12bsrilu0_9_32ILj64ELj64ELj16EdEEv20rocsparse_direction_iPKiS3_PT2_S3_iPiS3_S6_21rocsparse_index_base_imNS_24const_host_device_scalarIfEENS8_IdEENS8_IS4_EEb.uses_flat_scratch, 0
	.set _ZN9rocsparseL12bsrilu0_9_32ILj64ELj64ELj16EdEEv20rocsparse_direction_iPKiS3_PT2_S3_iPiS3_S6_21rocsparse_index_base_imNS_24const_host_device_scalarIfEENS8_IdEENS8_IS4_EEb.has_dyn_sized_stack, 0
	.set _ZN9rocsparseL12bsrilu0_9_32ILj64ELj64ELj16EdEEv20rocsparse_direction_iPKiS3_PT2_S3_iPiS3_S6_21rocsparse_index_base_imNS_24const_host_device_scalarIfEENS8_IdEENS8_IS4_EEb.has_recursion, 0
	.set _ZN9rocsparseL12bsrilu0_9_32ILj64ELj64ELj16EdEEv20rocsparse_direction_iPKiS3_PT2_S3_iPiS3_S6_21rocsparse_index_base_imNS_24const_host_device_scalarIfEENS8_IdEENS8_IS4_EEb.has_indirect_call, 0
	.section	.AMDGPU.csdata,"",@progbits
; Kernel info:
; codeLenInByte = 5512
; TotalNumSgprs: 49
; NumVgprs: 38
; ScratchSize: 0
; MemoryBound: 0
; FloatMode: 240
; IeeeMode: 1
; LDSByteSize: 4352 bytes/workgroup (compile time only)
; SGPRBlocks: 0
; VGPRBlocks: 2
; NumSGPRsForWavesPerEU: 49
; NumVGPRsForWavesPerEU: 38
; NamedBarCnt: 0
; Occupancy: 16
; WaveLimiterHint : 1
; COMPUTE_PGM_RSRC2:SCRATCH_EN: 0
; COMPUTE_PGM_RSRC2:USER_SGPR: 2
; COMPUTE_PGM_RSRC2:TRAP_HANDLER: 0
; COMPUTE_PGM_RSRC2:TGID_X_EN: 1
; COMPUTE_PGM_RSRC2:TGID_Y_EN: 0
; COMPUTE_PGM_RSRC2:TGID_Z_EN: 0
; COMPUTE_PGM_RSRC2:TIDIG_COMP_CNT: 1
	.section	.text._ZN9rocsparseL12bsrilu0_9_32ILj64ELj64ELj32EdEEv20rocsparse_direction_iPKiS3_PT2_S3_iPiS3_S6_21rocsparse_index_base_imNS_24const_host_device_scalarIfEENS8_IdEENS8_IS4_EEb,"axG",@progbits,_ZN9rocsparseL12bsrilu0_9_32ILj64ELj64ELj32EdEEv20rocsparse_direction_iPKiS3_PT2_S3_iPiS3_S6_21rocsparse_index_base_imNS_24const_host_device_scalarIfEENS8_IdEENS8_IS4_EEb,comdat
	.globl	_ZN9rocsparseL12bsrilu0_9_32ILj64ELj64ELj32EdEEv20rocsparse_direction_iPKiS3_PT2_S3_iPiS3_S6_21rocsparse_index_base_imNS_24const_host_device_scalarIfEENS8_IdEENS8_IS4_EEb ; -- Begin function _ZN9rocsparseL12bsrilu0_9_32ILj64ELj64ELj32EdEEv20rocsparse_direction_iPKiS3_PT2_S3_iPiS3_S6_21rocsparse_index_base_imNS_24const_host_device_scalarIfEENS8_IdEENS8_IS4_EEb
	.p2align	8
	.type	_ZN9rocsparseL12bsrilu0_9_32ILj64ELj64ELj32EdEEv20rocsparse_direction_iPKiS3_PT2_S3_iPiS3_S6_21rocsparse_index_base_imNS_24const_host_device_scalarIfEENS8_IdEENS8_IS4_EEb,@function
_ZN9rocsparseL12bsrilu0_9_32ILj64ELj64ELj32EdEEv20rocsparse_direction_iPKiS3_PT2_S3_iPiS3_S6_21rocsparse_index_base_imNS_24const_host_device_scalarIfEENS8_IdEENS8_IS4_EEb: ; @_ZN9rocsparseL12bsrilu0_9_32ILj64ELj64ELj32EdEEv20rocsparse_direction_iPKiS3_PT2_S3_iPiS3_S6_21rocsparse_index_base_imNS_24const_host_device_scalarIfEENS8_IdEENS8_IS4_EEb
; %bb.0:
	s_clause 0x2
	s_load_b32 s2, s[0:1], 0x70
	s_load_b64 s[24:25], s[0:1], 0x48
	s_load_b256 s[16:23], s[0:1], 0x50
	s_wait_kmcnt 0x0
	s_bitcmp1_b32 s2, 0
	s_cselect_b32 s2, -1, 0
	s_cmp_eq_u32 s25, 0
	s_cselect_b32 s4, -1, 0
	s_cmp_lg_u32 s25, 0
	s_cselect_b32 s33, -1, 0
	s_or_b32 s6, s4, s2
	s_delay_alu instid0(SALU_CYCLE_1)
	s_xor_b32 s5, s6, -1
	s_and_b32 s2, s4, exec_lo
	s_cselect_b32 s3, 0, s21
	s_cselect_b32 s2, 0, s20
	s_cselect_b32 s34, 0, s18
	s_and_b32 vcc_lo, exec_lo, s6
	s_cbranch_vccnz .LBB11_2
; %bb.1:
	s_load_b32 s34, s[18:19], 0x0
	s_mov_b64 s[2:3], s[20:21]
.LBB11_2:
	s_delay_alu instid0(SALU_CYCLE_1)
	v_mov_b64_e32 v[4:5], s[2:3]
	v_cndmask_b32_e64 v1, 0, 1, s5
	s_and_not1_b32 vcc_lo, exec_lo, s5
	s_cbranch_vccnz .LBB11_4
; %bb.3:
	v_mov_b32_e32 v2, 0
	flat_load_b64 v[4:5], v2, s[20:21]
.LBB11_4:
	s_and_b32 s2, s4, exec_lo
	s_cselect_b32 s3, 0, s23
	s_cselect_b32 s2, 0, s22
	v_cmp_ne_u32_e32 vcc_lo, 1, v1
	s_wait_xcnt 0x0
	v_mov_b64_e32 v[2:3], s[2:3]
	s_cbranch_vccnz .LBB11_6
; %bb.5:
	v_mov_b32_e32 v1, 0
	flat_load_b64 v[2:3], v1, s[22:23]
.LBB11_6:
	s_wait_xcnt 0x0
	s_load_b128 s[20:23], s[0:1], 0x30
	s_bfe_u32 s2, ttmp6, 0x4000c
	s_and_b32 s3, ttmp6, 15
	s_add_co_i32 s2, s2, 1
	s_getreg_b32 s4, hwreg(HW_REG_IB_STS2, 6, 4)
	s_mul_i32 s2, ttmp9, s2
	s_delay_alu instid0(SALU_CYCLE_1)
	s_add_co_i32 s3, s3, s2
	s_cmp_eq_u32 s4, 0
	s_cselect_b32 s2, ttmp9, s3
	s_load_b64 s[18:19], s[0:1], 0x40
	s_wait_kmcnt 0x0
	s_load_b32 s26, s[22:23], s2 offset:0x0 scale_offset
	s_load_b256 s[8:15], s[0:1], 0x8
	s_wait_kmcnt 0x0
	s_ashr_i32 s27, s26, 31
	s_delay_alu instid0(SALU_CYCLE_1) | instskip(NEXT) | instid1(SALU_CYCLE_1)
	s_lshl_b64 s[22:23], s[26:27], 2
	s_add_nc_u64 s[2:3], s[14:15], s[22:23]
	s_load_b32 s31, s[2:3], 0x0
	s_wait_kmcnt 0x0
	s_cmp_eq_u32 s31, -1
	s_cbranch_scc1 .LBB11_103
; %bb.7:
	s_add_nc_u64 s[2:3], s[8:9], s[22:23]
	s_mov_b32 s25, 0
	s_load_b64 s[4:5], s[2:3], 0x0
	s_clause 0x1
	s_load_b64 s[28:29], s[0:1], 0x0
	s_load_b32 s27, s[0:1], 0x28
	s_wait_kmcnt 0x0
	s_sub_co_i32 s35, s4, s24
	s_sub_co_i32 s30, s5, s24
	s_cmp_ge_i32 s35, s31
	s_cbranch_scc1 .LBB11_92
; %bb.8:
	v_and_b32_e32 v14, 0x3ff, v0
	v_bfe_u32 v1, v0, 10, 10
	s_cmp_lg_u32 s28, 0
	s_mul_i32 s38, s27, s27
	s_cselect_b32 s36, -1, 0
	v_mad_u32 v8, s27, s35, v14
	v_dual_lshlrev_b32 v6, 5, v1 :: v_dual_lshlrev_b32 v10, 3, v14
	v_cmp_gt_i32_e64 s0, s27, v14
	v_cmp_le_i32_e64 s1, s27, v14
	v_cmp_gt_i32_e64 s2, s27, v1
	s_delay_alu instid0(VALU_DEP_4)
	v_add3_u32 v6, v6, v14, s35
	v_add_nc_u32_e32 v15, 1, v1
	v_mad_u32_u24 v16, 0x108, v1, v10
	v_cmp_eq_u32_e64 s3, 0, v1
	v_mul_u32_u24_e32 v17, 0x108, v1
	v_mul_lo_u32 v18, s27, v8
	v_ashrrev_i32_e32 v7, 31, v6
	v_cmp_gt_i32_e64 s4, s30, v6
	v_add_nc_u32_e32 v19, 0x2208, v16
	v_mad_u32_u24 v20, 0x108, v1, 0x108
	v_add_nc_u32_e32 v21, 0x2100, v10
	v_lshl_add_u64 v[8:9], v[6:7], 2, s[10:11]
	v_dual_mov_b32 v22, 0 :: v_dual_add_nc_u32 v7, 0x2100, v16
	s_cmp_gt_i32 s27, 0
	s_cselect_b32 s37, -1, 0
	s_add_co_i32 s29, s29, 1
	s_lshl_b32 s39, s27, 5
	s_branch .LBB11_11
.LBB11_9:                               ;   in Loop: Header=BB11_11 Depth=1
	s_mov_b32 s25, -1
.LBB11_10:                              ;   in Loop: Header=BB11_11 Depth=1
	s_add_co_i32 s35, s35, 1
	v_add_nc_u32_e32 v18, s38, v18
	s_cmp_lt_i32 s35, s31
	s_cselect_b32 s6, -1, 0
	s_delay_alu instid0(SALU_CYCLE_1) | instskip(NEXT) | instid1(SALU_CYCLE_1)
	s_and_b32 s5, s5, s6
	s_and_b32 vcc_lo, exec_lo, s5
	s_cbranch_vccz .LBB11_92
.LBB11_11:                              ; =>This Loop Header: Depth=1
                                        ;     Child Loop BB11_14 Depth 2
                                        ;       Child Loop BB11_17 Depth 3
                                        ;     Child Loop BB11_23 Depth 2
                                        ;     Child Loop BB11_27 Depth 2
                                        ;       Child Loop BB11_30 Depth 3
                                        ;     Child Loop BB11_37 Depth 2
                                        ;       Child Loop BB11_40 Depth 3
                                        ;         Child Loop BB11_44 Depth 4
                                        ;     Child Loop BB11_48 Depth 2
                                        ;       Child Loop BB11_51 Depth 3
                                        ;     Child Loop BB11_60 Depth 2
                                        ;       Child Loop BB11_65 Depth 3
                                        ;       Child Loop BB11_74 Depth 3
                                        ;         Child Loop BB11_77 Depth 4
                                        ;       Child Loop BB11_83 Depth 3
                                        ;         Child Loop BB11_86 Depth 4
                                        ;           Child Loop BB11_87 Depth 5
	s_wait_xcnt 0x0
	v_mov_b32_e32 v10, s35
	global_load_b32 v10, v10, s[10:11] scale_offset
	s_wait_loadcnt 0x0
	v_readfirstlane_b32 s5, v10
	s_wait_xcnt 0x0
	s_and_saveexec_b32 s6, s0
	s_cbranch_execz .LBB11_21
; %bb.12:                               ;   in Loop: Header=BB11_11 Depth=1
	v_dual_mov_b32 v10, v7 :: v_dual_mov_b32 v11, v18
	v_mov_b32_e32 v12, v14
	s_mul_i32 s7, s35, s27
	s_mov_b32 s40, 0
	s_branch .LBB11_14
.LBB11_13:                              ;   in Loop: Header=BB11_14 Depth=2
	s_or_b32 exec_lo, exec_lo, s41
	v_dual_add_nc_u32 v12, 32, v12 :: v_dual_add_nc_u32 v11, s39, v11
	v_add_nc_u32_e32 v10, 0x100, v10
	s_delay_alu instid0(VALU_DEP_2) | instskip(SKIP_1) | instid1(SALU_CYCLE_1)
	v_cmp_le_i32_e32 vcc_lo, s27, v12
	s_or_b32 s40, vcc_lo, s40
	s_and_not1_b32 exec_lo, exec_lo, s40
	s_cbranch_execz .LBB11_21
.LBB11_14:                              ;   Parent Loop BB11_11 Depth=1
                                        ; =>  This Loop Header: Depth=2
                                        ;       Child Loop BB11_17 Depth 3
	s_and_saveexec_b32 s41, s2
	s_cbranch_execz .LBB11_13
; %bb.15:                               ;   in Loop: Header=BB11_14 Depth=2
	v_dual_mov_b32 v13, v10 :: v_dual_mov_b32 v23, v1
	s_mov_b32 s42, 0
	s_branch .LBB11_17
.LBB11_16:                              ;   in Loop: Header=BB11_17 Depth=3
	global_load_b64 v[24:25], v24, s[12:13] scale_offset
	v_add_nc_u32_e32 v23, 2, v23
	s_delay_alu instid0(VALU_DEP_1)
	v_cmp_le_i32_e32 vcc_lo, s27, v23
	s_or_b32 s42, vcc_lo, s42
	s_wait_loadcnt 0x0
	ds_store_b64 v13, v[24:25]
	v_add_nc_u32_e32 v13, 0x210, v13
	s_wait_xcnt 0x0
	s_and_not1_b32 exec_lo, exec_lo, s42
	s_cbranch_execz .LBB11_13
.LBB11_17:                              ;   Parent Loop BB11_11 Depth=1
                                        ;     Parent Loop BB11_14 Depth=2
                                        ; =>    This Inner Loop Header: Depth=3
	s_and_b32 vcc_lo, exec_lo, s36
	s_cbranch_vccz .LBB11_19
; %bb.18:                               ;   in Loop: Header=BB11_17 Depth=3
	v_add_nc_u32_e32 v24, s7, v23
	s_delay_alu instid0(VALU_DEP_1)
	v_mad_u32 v24, v24, s27, v12
	s_cbranch_execnz .LBB11_16
	s_branch .LBB11_20
.LBB11_19:                              ;   in Loop: Header=BB11_17 Depth=3
                                        ; implicit-def: $vgpr24
.LBB11_20:                              ;   in Loop: Header=BB11_17 Depth=3
	v_add_nc_u32_e32 v24, v11, v23
	s_branch .LBB11_16
.LBB11_21:                              ;   in Loop: Header=BB11_11 Depth=1
	s_or_b32 exec_lo, exec_lo, s6
	s_sub_co_i32 s6, s5, s24
	s_delay_alu instid0(SALU_CYCLE_1)
	v_mov_b32_e32 v10, s6
	global_load_b32 v10, v10, s[14:15] scale_offset
	s_wait_loadcnt 0x0
	v_cmp_eq_u32_e32 vcc_lo, -1, v10
	v_readfirstlane_b32 s40, v10
	v_cmp_ne_u32_e64 s5, -1, v10
	s_cbranch_vccnz .LBB11_9
; %bb.22:                               ;   in Loop: Header=BB11_11 Depth=1
	s_ashr_i32 s7, s6, 31
	s_delay_alu instid0(SALU_CYCLE_1) | instskip(NEXT) | instid1(SALU_CYCLE_1)
	s_lshl_b64 s[6:7], s[6:7], 2
	s_add_nc_u64 s[42:43], s[8:9], s[6:7]
	s_add_nc_u64 s[6:7], s[20:21], s[6:7]
	global_load_b32 v10, v22, s[42:43] offset:4
	s_wait_loadcnt 0x0
	v_readfirstlane_b32 s41, v10
.LBB11_23:                              ;   Parent Loop BB11_11 Depth=1
                                        ; =>  This Inner Loop Header: Depth=2
	global_load_b32 v10, v22, s[6:7] scope:SCOPE_DEV
	s_wait_loadcnt 0x0
	v_cmp_eq_u32_e32 vcc_lo, 0, v10
	s_cbranch_vccnz .LBB11_23
; %bb.24:                               ;   in Loop: Header=BB11_11 Depth=1
	s_wait_dscnt 0x0
	global_inv scope:SCOPE_DEV
	s_wait_xcnt 0x0
	s_and_saveexec_b32 s6, s0
	s_cbranch_execz .LBB11_34
; %bb.25:                               ;   in Loop: Header=BB11_11 Depth=1
	s_mul_i32 s7, s40, s27
	s_delay_alu instid0(SALU_CYCLE_1) | instskip(SKIP_2) | instid1(VALU_DEP_2)
	v_dual_mov_b32 v12, v14 :: v_dual_add_nc_u32 v10, s7, v14
	v_mov_b32_e32 v11, v16
	s_mov_b32 s42, 0
	v_mul_lo_u32 v10, s27, v10
	s_branch .LBB11_27
.LBB11_26:                              ;   in Loop: Header=BB11_27 Depth=2
	s_or_b32 exec_lo, exec_lo, s43
	s_delay_alu instid0(VALU_DEP_1) | instskip(SKIP_1) | instid1(VALU_DEP_2)
	v_dual_add_nc_u32 v12, 32, v12 :: v_dual_add_nc_u32 v10, s39, v10
	v_add_nc_u32_e32 v11, 0x100, v11
	v_cmp_le_i32_e32 vcc_lo, s27, v12
	s_or_b32 s42, vcc_lo, s42
	s_delay_alu instid0(SALU_CYCLE_1)
	s_and_not1_b32 exec_lo, exec_lo, s42
	s_cbranch_execz .LBB11_34
.LBB11_27:                              ;   Parent Loop BB11_11 Depth=1
                                        ; =>  This Loop Header: Depth=2
                                        ;       Child Loop BB11_30 Depth 3
	s_and_saveexec_b32 s43, s2
	s_cbranch_execz .LBB11_26
; %bb.28:                               ;   in Loop: Header=BB11_27 Depth=2
	v_dual_mov_b32 v13, v11 :: v_dual_mov_b32 v23, v1
	s_mov_b32 s44, 0
	s_branch .LBB11_30
.LBB11_29:                              ;   in Loop: Header=BB11_30 Depth=3
	global_load_b64 v[24:25], v24, s[12:13] scale_offset
	v_add_nc_u32_e32 v23, 2, v23
	s_delay_alu instid0(VALU_DEP_1)
	v_cmp_le_i32_e32 vcc_lo, s27, v23
	s_or_b32 s44, vcc_lo, s44
	s_wait_loadcnt 0x0
	ds_store_b64 v13, v[24:25]
	v_add_nc_u32_e32 v13, 0x210, v13
	s_wait_xcnt 0x0
	s_and_not1_b32 exec_lo, exec_lo, s44
	s_cbranch_execz .LBB11_26
.LBB11_30:                              ;   Parent Loop BB11_11 Depth=1
                                        ;     Parent Loop BB11_27 Depth=2
                                        ; =>    This Inner Loop Header: Depth=3
	s_and_b32 vcc_lo, exec_lo, s36
	s_cbranch_vccz .LBB11_32
; %bb.31:                               ;   in Loop: Header=BB11_30 Depth=3
	v_add_nc_u32_e32 v24, s7, v23
	s_delay_alu instid0(VALU_DEP_1)
	v_mad_u32 v24, v24, s27, v12
	s_cbranch_execnz .LBB11_29
	s_branch .LBB11_33
.LBB11_32:                              ;   in Loop: Header=BB11_30 Depth=3
                                        ; implicit-def: $vgpr24
.LBB11_33:                              ;   in Loop: Header=BB11_30 Depth=3
	s_delay_alu instid0(VALU_DEP_2)
	v_add_nc_u32_e32 v24, v10, v23
	s_branch .LBB11_29
.LBB11_34:                              ;   in Loop: Header=BB11_11 Depth=1
	s_or_b32 exec_lo, exec_lo, s6
	s_delay_alu instid0(SALU_CYCLE_1)
	s_and_not1_b32 vcc_lo, exec_lo, s37
	s_wait_loadcnt_dscnt 0x0
	s_cbranch_vccnz .LBB11_45
; %bb.35:                               ;   in Loop: Header=BB11_11 Depth=1
	v_dual_mov_b32 v23, v20 :: v_dual_mov_b32 v24, v19
	s_mov_b32 s7, 0
	s_branch .LBB11_37
.LBB11_36:                              ;   in Loop: Header=BB11_37 Depth=2
	s_or_b32 exec_lo, exec_lo, s42
	v_add_nc_u32_e32 v24, 0x108, v24
	v_add_nc_u32_e32 v23, 0x110, v23
	s_add_co_i32 s7, s7, 1
	s_wait_dscnt 0x0
	s_cmp_eq_u32 s7, s27
	s_cbranch_scc1 .LBB11_45
.LBB11_37:                              ;   Parent Loop BB11_11 Depth=1
                                        ; =>  This Loop Header: Depth=2
                                        ;       Child Loop BB11_40 Depth 3
                                        ;         Child Loop BB11_44 Depth 4
	s_and_saveexec_b32 s42, s0
	s_cbranch_execz .LBB11_36
; %bb.38:                               ;   in Loop: Header=BB11_37 Depth=2
	s_mul_i32 s43, s7, 0x108
	s_lshl_b32 s6, s7, 3
	v_dual_mov_b32 v26, v24 :: v_dual_mov_b32 v27, v14
	s_add_co_i32 s6, s43, s6
	s_delay_alu instid0(SALU_CYCLE_1) | instskip(SKIP_2) | instid1(VALU_DEP_1)
	v_dual_mov_b32 v10, s6 :: v_dual_add_nc_u32 v25, s7, v15
	s_addk_co_i32 s43, 0x2100
	s_mov_b32 s44, 0
	v_cmp_gt_i32_e64 s6, s27, v25
	ds_load_b64 v[10:11], v10
	s_branch .LBB11_40
.LBB11_39:                              ;   in Loop: Header=BB11_40 Depth=3
	s_or_b32 exec_lo, exec_lo, s45
	v_add_nc_u32_e32 v27, 32, v27
	v_add_nc_u32_e32 v26, 0x100, v26
	s_delay_alu instid0(VALU_DEP_2) | instskip(SKIP_1) | instid1(SALU_CYCLE_1)
	v_cmp_le_i32_e32 vcc_lo, s27, v27
	s_or_b32 s44, vcc_lo, s44
	s_and_not1_b32 exec_lo, exec_lo, s44
	s_cbranch_execz .LBB11_36
.LBB11_40:                              ;   Parent Loop BB11_11 Depth=1
                                        ;     Parent Loop BB11_37 Depth=2
                                        ; =>    This Loop Header: Depth=3
                                        ;         Child Loop BB11_44 Depth 4
	v_lshl_add_u32 v28, v27, 3, s43
	ds_load_b64 v[12:13], v28
	s_wait_dscnt 0x0
	v_div_scale_f64 v[30:31], null, v[10:11], v[10:11], v[12:13]
	s_delay_alu instid0(VALU_DEP_1) | instskip(SKIP_1) | instid1(TRANS32_DEP_1)
	v_rcp_f64_e32 v[32:33], v[30:31]
	v_nop
	v_fma_f64 v[34:35], -v[30:31], v[32:33], 1.0
	s_delay_alu instid0(VALU_DEP_1) | instskip(NEXT) | instid1(VALU_DEP_1)
	v_fmac_f64_e32 v[32:33], v[32:33], v[34:35]
	v_fma_f64 v[34:35], -v[30:31], v[32:33], 1.0
	s_delay_alu instid0(VALU_DEP_1) | instskip(SKIP_1) | instid1(VALU_DEP_1)
	v_fmac_f64_e32 v[32:33], v[32:33], v[34:35]
	v_div_scale_f64 v[34:35], vcc_lo, v[12:13], v[10:11], v[12:13]
	v_mul_f64_e32 v[36:37], v[34:35], v[32:33]
	s_delay_alu instid0(VALU_DEP_1) | instskip(NEXT) | instid1(VALU_DEP_1)
	v_fma_f64 v[30:31], -v[30:31], v[36:37], v[34:35]
	v_div_fmas_f64 v[30:31], v[30:31], v[32:33], v[36:37]
	s_delay_alu instid0(VALU_DEP_1)
	v_div_fixup_f64 v[12:13], v[30:31], v[10:11], v[12:13]
	s_and_saveexec_b32 s45, s3
; %bb.41:                               ;   in Loop: Header=BB11_40 Depth=3
	ds_store_b64 v28, v[12:13]
; %bb.42:                               ;   in Loop: Header=BB11_40 Depth=3
	s_or_b32 exec_lo, exec_lo, s45
	s_and_saveexec_b32 s45, s6
	s_cbranch_execz .LBB11_39
; %bb.43:                               ;   in Loop: Header=BB11_40 Depth=3
	v_dual_mov_b32 v28, v23 :: v_dual_mov_b32 v29, v26
	v_mov_b32_e32 v30, v25
	s_mov_b32 s46, 0
.LBB11_44:                              ;   Parent Loop BB11_11 Depth=1
                                        ;     Parent Loop BB11_37 Depth=2
                                        ;       Parent Loop BB11_40 Depth=3
                                        ; =>      This Inner Loop Header: Depth=4
	ds_load_b64 v[32:33], v28
	ds_load_b64 v[34:35], v29
	v_add_nc_u32_e32 v28, 0x210, v28
	v_add_nc_u32_e32 v30, 2, v30
	s_delay_alu instid0(VALU_DEP_1)
	v_cmp_le_i32_e32 vcc_lo, s27, v30
	s_or_b32 s46, vcc_lo, s46
	s_wait_dscnt 0x0
	v_fma_f64 v[32:33], -v[12:13], v[32:33], v[34:35]
	ds_store_b64 v29, v[32:33]
	v_add_nc_u32_e32 v29, 0x210, v29
	s_and_not1_b32 exec_lo, exec_lo, s46
	s_cbranch_execnz .LBB11_44
	s_branch .LBB11_39
.LBB11_45:                              ;   in Loop: Header=BB11_11 Depth=1
	s_and_saveexec_b32 s6, s0
	s_cbranch_execz .LBB11_55
; %bb.46:                               ;   in Loop: Header=BB11_11 Depth=1
	v_dual_mov_b32 v12, v7 :: v_dual_mov_b32 v13, v18
	v_mov_b32_e32 v23, v14
	s_mul_i32 s7, s35, s27
	s_mov_b32 s42, 0
	s_branch .LBB11_48
.LBB11_47:                              ;   in Loop: Header=BB11_48 Depth=2
	s_or_b32 exec_lo, exec_lo, s43
	v_dual_add_nc_u32 v23, 32, v23 :: v_dual_add_nc_u32 v13, s39, v13
	v_add_nc_u32_e32 v12, 0x100, v12
	s_delay_alu instid0(VALU_DEP_2) | instskip(SKIP_1) | instid1(SALU_CYCLE_1)
	v_cmp_le_i32_e32 vcc_lo, s27, v23
	s_or_b32 s42, vcc_lo, s42
	s_and_not1_b32 exec_lo, exec_lo, s42
	s_cbranch_execz .LBB11_55
.LBB11_48:                              ;   Parent Loop BB11_11 Depth=1
                                        ; =>  This Loop Header: Depth=2
                                        ;       Child Loop BB11_51 Depth 3
	s_and_saveexec_b32 s43, s2
	s_cbranch_execz .LBB11_47
; %bb.49:                               ;   in Loop: Header=BB11_48 Depth=2
	v_dual_mov_b32 v24, v12 :: v_dual_mov_b32 v25, v1
	s_mov_b32 s44, 0
	s_branch .LBB11_51
.LBB11_50:                              ;   in Loop: Header=BB11_51 Depth=3
	v_add_nc_u32_e32 v25, 2, v25
	v_add_nc_u32_e32 v24, 0x210, v24
	s_wait_dscnt 0x0
	global_store_b64 v26, v[10:11], s[12:13] scale_offset
	v_cmp_le_i32_e32 vcc_lo, s27, v25
	s_or_b32 s44, vcc_lo, s44
	s_wait_xcnt 0x0
	s_and_not1_b32 exec_lo, exec_lo, s44
	s_cbranch_execz .LBB11_47
.LBB11_51:                              ;   Parent Loop BB11_11 Depth=1
                                        ;     Parent Loop BB11_48 Depth=2
                                        ; =>    This Inner Loop Header: Depth=3
	ds_load_b64 v[10:11], v24
	s_and_b32 vcc_lo, exec_lo, s36
	s_cbranch_vccz .LBB11_53
; %bb.52:                               ;   in Loop: Header=BB11_51 Depth=3
	v_add_nc_u32_e32 v26, s7, v25
	s_delay_alu instid0(VALU_DEP_1)
	v_mad_u32 v26, v26, s27, v23
	s_cbranch_execnz .LBB11_50
	s_branch .LBB11_54
.LBB11_53:                              ;   in Loop: Header=BB11_51 Depth=3
                                        ; implicit-def: $vgpr26
.LBB11_54:                              ;   in Loop: Header=BB11_51 Depth=3
	v_add_nc_u32_e32 v26, v13, v25
	s_branch .LBB11_50
.LBB11_55:                              ;   in Loop: Header=BB11_11 Depth=1
	s_or_b32 exec_lo, exec_lo, s6
	s_sub_co_i32 s6, s41, s24
	s_add_co_i32 s7, s40, 1
	s_delay_alu instid0(SALU_CYCLE_1)
	s_cmp_ge_i32 s7, s6
	s_cbranch_scc1 .LBB11_10
; %bb.56:                               ;   in Loop: Header=BB11_11 Depth=1
	v_mad_u32 v10, s27, s7, v14
	s_delay_alu instid0(VALU_DEP_1)
	v_mul_lo_u32 v12, s27, v10
	s_branch .LBB11_60
.LBB11_57:                              ;   in Loop: Header=BB11_60 Depth=2
	s_or_b32 exec_lo, exec_lo, s41
.LBB11_58:                              ;   in Loop: Header=BB11_60 Depth=2
	s_delay_alu instid0(SALU_CYCLE_1)
	s_or_b32 exec_lo, exec_lo, s40
.LBB11_59:                              ;   in Loop: Header=BB11_60 Depth=2
	v_add_nc_u32_e32 v12, s38, v12
	s_add_co_i32 s7, s7, 1
	s_wait_storecnt_dscnt 0x0
	s_cmp_lt_i32 s7, s6
	s_cbranch_scc0 .LBB11_10
.LBB11_60:                              ;   Parent Loop BB11_11 Depth=1
                                        ; =>  This Loop Header: Depth=2
                                        ;       Child Loop BB11_65 Depth 3
                                        ;       Child Loop BB11_74 Depth 3
                                        ;         Child Loop BB11_77 Depth 4
                                        ;       Child Loop BB11_83 Depth 3
                                        ;         Child Loop BB11_86 Depth 4
                                        ;           Child Loop BB11_87 Depth 5
	v_dual_mov_b32 v10, s7 :: v_dual_mov_b32 v11, s29
	global_load_b32 v10, v10, s[10:11] scale_offset
	s_wait_xcnt 0x0
	s_and_saveexec_b32 s40, s4
	s_cbranch_execz .LBB11_62
; %bb.61:                               ;   in Loop: Header=BB11_60 Depth=2
	global_load_b32 v11, v[8:9], off
	s_wait_loadcnt 0x0
	v_subrev_nc_u32_e32 v11, s24, v11
.LBB11_62:                              ;   in Loop: Header=BB11_60 Depth=2
	s_wait_xcnt 0x0
	s_or_b32 exec_lo, exec_lo, s40
	s_wait_loadcnt 0x0
	v_subrev_nc_u32_e32 v10, s24, v10
	v_mov_b32_e32 v13, v6
	s_mov_b32 s40, exec_lo
	s_delay_alu instid0(VALU_DEP_2)
	v_cmpx_lt_i32_e64 v11, v10
	s_cbranch_execz .LBB11_68
; %bb.63:                               ;   in Loop: Header=BB11_60 Depth=2
	v_mov_b32_e32 v23, v6
	s_mov_b32 s41, 0
	s_branch .LBB11_65
.LBB11_64:                              ;   in Loop: Header=BB11_65 Depth=3
	s_wait_xcnt 0x0
	s_or_b32 exec_lo, exec_lo, s42
	s_delay_alu instid0(VALU_DEP_1) | instskip(SKIP_2) | instid1(SALU_CYCLE_1)
	v_cmp_ge_i32_e32 vcc_lo, v11, v10
	v_mov_b32_e32 v23, v13
	s_or_b32 s41, vcc_lo, s41
	s_and_not1_b32 exec_lo, exec_lo, s41
	s_cbranch_execz .LBB11_67
.LBB11_65:                              ;   Parent Loop BB11_11 Depth=1
                                        ;     Parent Loop BB11_60 Depth=2
                                        ; =>    This Inner Loop Header: Depth=3
	s_delay_alu instid0(VALU_DEP_1) | instskip(SKIP_1) | instid1(VALU_DEP_1)
	v_dual_add_nc_u32 v13, 64, v23 :: v_dual_mov_b32 v11, s29
	s_mov_b32 s42, exec_lo
	v_cmpx_gt_i32_e64 s30, v13
	s_cbranch_execz .LBB11_64
; %bb.66:                               ;   in Loop: Header=BB11_65 Depth=3
	global_load_b32 v11, v23, s[10:11] offset:256 scale_offset
	s_wait_loadcnt 0x0
	v_subrev_nc_u32_e32 v11, s24, v11
	s_branch .LBB11_64
.LBB11_67:                              ;   in Loop: Header=BB11_60 Depth=2
	s_or_b32 exec_lo, exec_lo, s41
.LBB11_68:                              ;   in Loop: Header=BB11_60 Depth=2
	s_delay_alu instid0(SALU_CYCLE_1)
	s_or_b32 exec_lo, exec_lo, s40
	v_cmp_eq_u32_e32 vcc_lo, v11, v10
	s_cbranch_vccz .LBB11_59
; %bb.69:                               ;   in Loop: Header=BB11_60 Depth=2
	s_ctz_i32_b32 s40, vcc_lo
	s_delay_alu instid0(SALU_CYCLE_1) | instskip(NEXT) | instid1(SALU_CYCLE_1)
	s_lshl_b32 s40, s40, 2
	v_mov_b32_e32 v10, s40
	ds_bpermute_b32 v10, v10, v13
	s_and_saveexec_b32 s40, s1
	s_delay_alu instid0(SALU_CYCLE_1)
	s_xor_b32 s40, exec_lo, s40
	s_cbranch_execz .LBB11_71
; %bb.70:                               ;   in Loop: Header=BB11_60 Depth=2
                                        ; implicit-def: $vgpr10
	s_wait_storecnt_dscnt 0x0
.LBB11_71:                              ;   in Loop: Header=BB11_60 Depth=2
	s_and_not1_saveexec_b32 s40, s40
	s_cbranch_execz .LBB11_58
; %bb.72:                               ;   in Loop: Header=BB11_60 Depth=2
	v_dual_mov_b32 v11, v16 :: v_dual_mov_b32 v13, v12
	v_mov_b32_e32 v23, v14
	s_mul_i32 s42, s7, s27
	s_mov_b32 s41, 0
	s_branch .LBB11_74
.LBB11_73:                              ;   in Loop: Header=BB11_74 Depth=3
	s_or_b32 exec_lo, exec_lo, s43
	v_dual_add_nc_u32 v23, 32, v23 :: v_dual_add_nc_u32 v13, s39, v13
	v_add_nc_u32_e32 v11, 0x100, v11
	s_delay_alu instid0(VALU_DEP_2) | instskip(SKIP_1) | instid1(SALU_CYCLE_1)
	v_cmp_le_i32_e32 vcc_lo, s27, v23
	s_or_b32 s41, vcc_lo, s41
	s_and_not1_b32 exec_lo, exec_lo, s41
	s_cbranch_execz .LBB11_81
.LBB11_74:                              ;   Parent Loop BB11_11 Depth=1
                                        ;     Parent Loop BB11_60 Depth=2
                                        ; =>    This Loop Header: Depth=3
                                        ;         Child Loop BB11_77 Depth 4
	s_and_saveexec_b32 s43, s2
	s_cbranch_execz .LBB11_73
; %bb.75:                               ;   in Loop: Header=BB11_74 Depth=3
	v_dual_mov_b32 v24, v11 :: v_dual_mov_b32 v25, v1
	s_mov_b32 s44, 0
	s_branch .LBB11_77
.LBB11_76:                              ;   in Loop: Header=BB11_77 Depth=4
	global_load_b64 v[26:27], v26, s[12:13] scale_offset
	v_add_nc_u32_e32 v25, 2, v25
	s_delay_alu instid0(VALU_DEP_1)
	v_cmp_le_i32_e32 vcc_lo, s27, v25
	s_or_b32 s44, vcc_lo, s44
	s_wait_loadcnt 0x0
	ds_store_b64 v24, v[26:27]
	v_add_nc_u32_e32 v24, 0x210, v24
	s_wait_xcnt 0x0
	s_and_not1_b32 exec_lo, exec_lo, s44
	s_cbranch_execz .LBB11_73
.LBB11_77:                              ;   Parent Loop BB11_11 Depth=1
                                        ;     Parent Loop BB11_60 Depth=2
                                        ;       Parent Loop BB11_74 Depth=3
                                        ; =>      This Inner Loop Header: Depth=4
	s_and_b32 vcc_lo, exec_lo, s36
	s_cbranch_vccz .LBB11_79
; %bb.78:                               ;   in Loop: Header=BB11_77 Depth=4
	v_add_nc_u32_e32 v26, s42, v25
	s_delay_alu instid0(VALU_DEP_1)
	v_mad_u32 v26, v26, s27, v23
	s_cbranch_execnz .LBB11_76
	s_branch .LBB11_80
.LBB11_79:                              ;   in Loop: Header=BB11_77 Depth=4
                                        ; implicit-def: $vgpr26
.LBB11_80:                              ;   in Loop: Header=BB11_77 Depth=4
	v_add_nc_u32_e32 v26, v13, v25
	s_branch .LBB11_76
.LBB11_81:                              ;   in Loop: Header=BB11_60 Depth=2
	s_or_b32 exec_lo, exec_lo, s41
	s_wait_dscnt 0x0
	v_mul_lo_u32 v13, v10, s27
	v_dual_mov_b32 v23, v21 :: v_dual_mov_b32 v24, v14
	s_mov_b32 s41, 0
	s_wait_storecnt 0x0
	s_branch .LBB11_83
.LBB11_82:                              ;   in Loop: Header=BB11_83 Depth=3
	s_or_b32 exec_lo, exec_lo, s42
	v_add_nc_u32_e32 v24, 32, v24
	v_add_nc_u32_e32 v23, 0x100, v23
	s_delay_alu instid0(VALU_DEP_2) | instskip(SKIP_1) | instid1(SALU_CYCLE_1)
	v_cmp_le_i32_e32 vcc_lo, s27, v24
	s_or_b32 s41, vcc_lo, s41
	s_and_not1_b32 exec_lo, exec_lo, s41
	s_cbranch_execz .LBB11_57
.LBB11_83:                              ;   Parent Loop BB11_11 Depth=1
                                        ;     Parent Loop BB11_60 Depth=2
                                        ; =>    This Loop Header: Depth=3
                                        ;         Child Loop BB11_86 Depth 4
                                        ;           Child Loop BB11_87 Depth 5
	s_and_saveexec_b32 s42, s2
	s_cbranch_execz .LBB11_82
; %bb.84:                               ;   in Loop: Header=BB11_83 Depth=3
	s_delay_alu instid0(VALU_DEP_2) | instskip(SKIP_2) | instid1(VALU_DEP_2)
	v_dual_add_nc_u32 v10, v24, v13 :: v_dual_mov_b32 v26, v17
	v_mov_b32_e32 v27, v1
	s_mov_b32 s43, 0
	v_mul_lo_u32 v25, v10, s27
	s_branch .LBB11_86
.LBB11_85:                              ;   in Loop: Header=BB11_86 Depth=4
	global_load_b64 v[30:31], v28, s[12:13] scale_offset
	v_add_nc_u32_e32 v27, 2, v27
	v_add_nc_u32_e32 v26, 0x210, v26
	s_delay_alu instid0(VALU_DEP_2)
	v_cmp_le_i32_e32 vcc_lo, s27, v27
	s_or_b32 s43, vcc_lo, s43
	s_wait_loadcnt 0x0
	v_add_f64_e64 v[10:11], v[30:31], -v[10:11]
	global_store_b64 v28, v[10:11], s[12:13] scale_offset
	s_wait_xcnt 0x0
	s_and_not1_b32 exec_lo, exec_lo, s43
	s_cbranch_execz .LBB11_82
.LBB11_86:                              ;   Parent Loop BB11_11 Depth=1
                                        ;     Parent Loop BB11_60 Depth=2
                                        ;       Parent Loop BB11_83 Depth=3
                                        ; =>      This Loop Header: Depth=4
                                        ;           Child Loop BB11_87 Depth 5
	v_mov_b64_e32 v[10:11], 0
	v_dual_mov_b32 v28, v23 :: v_dual_mov_b32 v29, v26
	s_mov_b32 s44, s27
.LBB11_87:                              ;   Parent Loop BB11_11 Depth=1
                                        ;     Parent Loop BB11_60 Depth=2
                                        ;       Parent Loop BB11_83 Depth=3
                                        ;         Parent Loop BB11_86 Depth=4
                                        ; =>        This Inner Loop Header: Depth=5
	ds_load_b64 v[30:31], v28
	ds_load_b64 v[32:33], v29
	v_add_nc_u32_e32 v29, 8, v29
	v_add_nc_u32_e32 v28, 0x108, v28
	s_add_co_i32 s44, s44, -1
	s_delay_alu instid0(SALU_CYCLE_1)
	s_cmp_eq_u32 s44, 0
	s_wait_dscnt 0x0
	v_fmac_f64_e32 v[10:11], v[30:31], v[32:33]
	s_cbranch_scc0 .LBB11_87
; %bb.88:                               ;   in Loop: Header=BB11_86 Depth=4
	s_and_b32 vcc_lo, exec_lo, s36
	s_cbranch_vccz .LBB11_90
; %bb.89:                               ;   in Loop: Header=BB11_86 Depth=4
	v_add_nc_u32_e32 v28, v27, v13
	s_delay_alu instid0(VALU_DEP_1)
	v_mad_u32 v28, v28, s27, v24
	s_cbranch_execnz .LBB11_85
	s_branch .LBB11_91
.LBB11_90:                              ;   in Loop: Header=BB11_86 Depth=4
                                        ; implicit-def: $vgpr28
.LBB11_91:                              ;   in Loop: Header=BB11_86 Depth=4
	v_add_nc_u32_e32 v28, v27, v25
	s_branch .LBB11_85
.LBB11_92:
	v_mov_b32_e32 v1, s31
	global_load_b32 v1, v1, s[10:11] scale_offset
	s_wait_loadcnt 0x0
	s_wait_xcnt 0x0
	v_subrev_nc_u32_e32 v1, s24, v1
	s_delay_alu instid0(VALU_DEP_1)
	v_cmp_ne_u32_e32 vcc_lo, s26, v1
	s_cbranch_vccnz .LBB11_137
; %bb.93:
	v_and_b32_e32 v1, 0x3ff, v0
	s_delay_alu instid0(VALU_DEP_1)
	v_cmp_gt_i32_e64 s0, s27, v1
	v_lshlrev_b32_e32 v10, 3, v1
	s_and_saveexec_b32 s2, s0
	s_cbranch_execz .LBB11_104
; %bb.94:
	s_mul_i32 s3, s31, s27
	v_bfe_u32 v6, v0, 10, 10
	v_dual_add_nc_u32 v7, s3, v1 :: v_dual_mov_b32 v9, v1
	s_cmp_lg_u32 s28, 0
	s_mov_b32 s4, 0
	s_delay_alu instid0(VALU_DEP_2) | instskip(NEXT) | instid1(VALU_DEP_2)
	v_cmp_gt_u32_e64 s1, s27, v6
	v_mul_lo_u32 v7, s27, v7
	v_mad_u32_u24 v8, 0x108, v6, v10
	s_cselect_b32 s5, -1, 0
	s_lshl_b32 s6, s27, 5
	s_branch .LBB11_96
.LBB11_95:                              ;   in Loop: Header=BB11_96 Depth=1
	s_or_b32 exec_lo, exec_lo, s7
	s_delay_alu instid0(VALU_DEP_2) | instskip(SKIP_1) | instid1(VALU_DEP_2)
	v_dual_add_nc_u32 v9, 32, v9 :: v_dual_add_nc_u32 v7, s6, v7
	v_add_nc_u32_e32 v8, 0x100, v8
	v_cmp_le_i32_e32 vcc_lo, s27, v9
	s_or_b32 s4, vcc_lo, s4
	s_delay_alu instid0(SALU_CYCLE_1)
	s_and_not1_b32 exec_lo, exec_lo, s4
	s_cbranch_execz .LBB11_104
.LBB11_96:                              ; =>This Loop Header: Depth=1
                                        ;     Child Loop BB11_99 Depth 2
	s_and_saveexec_b32 s7, s1
	s_cbranch_execz .LBB11_95
; %bb.97:                               ;   in Loop: Header=BB11_96 Depth=1
	v_dual_mov_b32 v11, v8 :: v_dual_mov_b32 v12, v6
	s_mov_b32 s8, 0
	s_branch .LBB11_99
.LBB11_98:                              ;   in Loop: Header=BB11_99 Depth=2
	global_load_b64 v[14:15], v13, s[12:13] scale_offset
	v_add_nc_u32_e32 v12, 2, v12
	s_delay_alu instid0(VALU_DEP_1)
	v_cmp_le_i32_e32 vcc_lo, s27, v12
	s_or_b32 s8, vcc_lo, s8
	s_wait_loadcnt 0x0
	ds_store_b64 v11, v[14:15]
	v_add_nc_u32_e32 v11, 0x210, v11
	s_wait_xcnt 0x0
	s_and_not1_b32 exec_lo, exec_lo, s8
	s_cbranch_execz .LBB11_95
.LBB11_99:                              ;   Parent Loop BB11_96 Depth=1
                                        ; =>  This Inner Loop Header: Depth=2
	s_and_b32 vcc_lo, exec_lo, s5
	s_cbranch_vccz .LBB11_101
; %bb.100:                              ;   in Loop: Header=BB11_99 Depth=2
	v_add_nc_u32_e32 v13, s3, v12
	s_delay_alu instid0(VALU_DEP_1)
	v_mad_u32 v13, v13, s27, v9
	s_cbranch_execnz .LBB11_98
	s_branch .LBB11_102
.LBB11_101:                             ;   in Loop: Header=BB11_99 Depth=2
                                        ; implicit-def: $vgpr13
.LBB11_102:                             ;   in Loop: Header=BB11_99 Depth=2
	v_add_nc_u32_e32 v13, v7, v12
	s_branch .LBB11_98
.LBB11_103:
	s_mov_b32 s25, -1
	s_branch .LBB11_189
.LBB11_104:
	s_or_b32 exec_lo, exec_lo, s2
	s_cmp_lt_i32 s27, 1
	s_wait_storecnt_dscnt 0x0
	s_cbranch_scc1 .LBB11_126
; %bb.105:
	v_cvt_f64_f32_e32 v[6:7], s34
	v_bfe_u32 v11, v0, 10, 10
	s_cmp_eq_u64 s[16:17], 8
	s_mov_b32 s4, 0
	s_cselect_b32 vcc_lo, -1, 0
	s_delay_alu instid0(VALU_DEP_1) | instskip(SKIP_3) | instid1(VALU_DEP_3)
	v_or_b32_e32 v8, v1, v11
	v_mul_u32_u24_e32 v9, 0x108, v11
	v_cmp_eq_u32_e64 s1, 0, v11
	v_mad_u32_u24 v12, 0x108, v11, 0x108
	v_add3_u32 v13, v9, v10, 0x110
	v_cndmask_b32_e32 v5, v7, v5, vcc_lo
	v_cmp_eq_u32_e64 s2, 0, v8
	v_cndmask_b32_e32 v4, v6, v4, vcc_lo
.LBB11_106:                             ; =>This Loop Header: Depth=1
                                        ;     Child Loop BB11_118 Depth 2
                                        ;       Child Loop BB11_122 Depth 3
	s_mul_i32 s5, s4, 0x108
	s_lshl_b32 s3, s4, 3
	s_mov_b32 s7, -1
	s_add_co_i32 s6, s5, s3
	s_and_not1_b32 vcc_lo, exec_lo, s33
	v_mov_b32_e32 v6, s6
	s_mov_b32 s3, 0
	s_wait_dscnt 0x0
	ds_load_b64 v[8:9], v6
                                        ; implicit-def: $vgpr6_vgpr7
	s_cbranch_vccz .LBB11_111
; %bb.107:                              ;   in Loop: Header=BB11_106 Depth=1
	s_and_not1_b32 vcc_lo, exec_lo, s7
	s_mov_b32 s7, 0
	s_cbranch_vccz .LBB11_114
.LBB11_108:                             ;   in Loop: Header=BB11_106 Depth=1
	s_and_not1_b32 vcc_lo, exec_lo, s3
                                        ; implicit-def: $sgpr6
	s_cbranch_vccz .LBB11_115
.LBB11_109:                             ;   in Loop: Header=BB11_106 Depth=1
	s_and_not1_b32 vcc_lo, exec_lo, s7
	s_cbranch_vccz .LBB11_124
.LBB11_110:                             ;   in Loop: Header=BB11_106 Depth=1
	v_add_nc_u32_e32 v13, 0x110, v13
	v_add_nc_u32_e32 v12, 0x110, v12
	s_cmp_eq_u32 s6, s27
	s_cbranch_scc0 .LBB11_125
	s_branch .LBB11_126
.LBB11_111:                             ;   in Loop: Header=BB11_106 Depth=1
	s_wait_dscnt 0x0
	v_cmp_ge_f64_e64 vcc_lo, v[4:5], |v[8:9]|
	v_dual_cndmask_b32 v7, v9, v3 :: v_dual_cndmask_b32 v6, v8, v2
	s_and_saveexec_b32 s3, s2
; %bb.112:                              ;   in Loop: Header=BB11_106 Depth=1
	v_mov_b32_e32 v14, s6
	ds_store_b64 v14, v[6:7]
; %bb.113:                              ;   in Loop: Header=BB11_106 Depth=1
	s_or_b32 exec_lo, exec_lo, s3
	s_mov_b32 s3, -1
	s_mov_b32 s7, 0
	s_cbranch_execnz .LBB11_108
.LBB11_114:                             ;   in Loop: Header=BB11_106 Depth=1
	s_wait_dscnt 0x0
	v_cmp_neq_f64_e64 s3, 0, v[8:9]
	v_mov_b64_e32 v[6:7], v[8:9]
	s_mov_b32 s7, -1
	s_and_not1_b32 vcc_lo, exec_lo, s3
                                        ; implicit-def: $sgpr6
	s_cbranch_vccnz .LBB11_109
.LBB11_115:                             ;   in Loop: Header=BB11_106 Depth=1
	s_add_co_i32 s6, s4, 1
	s_mov_b32 s7, exec_lo
	v_add_nc_u32_e32 v14, s6, v1
	s_delay_alu instid0(VALU_DEP_1)
	v_cmpx_gt_i32_e64 s27, v14
	s_cbranch_execz .LBB11_123
; %bb.116:                              ;   in Loop: Header=BB11_106 Depth=1
	v_dual_mov_b32 v16, v13 :: v_dual_add_nc_u32 v15, s6, v11
	s_mov_b32 s8, 0
	s_delay_alu instid0(VALU_DEP_1)
	v_cmp_gt_i32_e64 s3, s27, v15
	s_branch .LBB11_118
.LBB11_117:                             ;   in Loop: Header=BB11_118 Depth=2
	s_or_b32 exec_lo, exec_lo, s9
	v_add_nc_u32_e32 v14, 32, v14
	v_add_nc_u32_e32 v16, 0x100, v16
	s_delay_alu instid0(VALU_DEP_2) | instskip(SKIP_1) | instid1(SALU_CYCLE_1)
	v_cmp_le_i32_e32 vcc_lo, s27, v14
	s_or_b32 s8, vcc_lo, s8
	s_and_not1_b32 exec_lo, exec_lo, s8
	s_cbranch_execz .LBB11_123
.LBB11_118:                             ;   Parent Loop BB11_106 Depth=1
                                        ; =>  This Loop Header: Depth=2
                                        ;       Child Loop BB11_122 Depth 3
	v_lshl_add_u32 v17, v14, 3, s5
	s_wait_dscnt 0x0
	ds_load_b64 v[8:9], v17
	s_wait_dscnt 0x0
	v_div_scale_f64 v[18:19], null, v[6:7], v[6:7], v[8:9]
	s_delay_alu instid0(VALU_DEP_1) | instskip(SKIP_1) | instid1(TRANS32_DEP_1)
	v_rcp_f64_e32 v[20:21], v[18:19]
	v_nop
	v_fma_f64 v[22:23], -v[18:19], v[20:21], 1.0
	s_delay_alu instid0(VALU_DEP_1) | instskip(NEXT) | instid1(VALU_DEP_1)
	v_fmac_f64_e32 v[20:21], v[20:21], v[22:23]
	v_fma_f64 v[22:23], -v[18:19], v[20:21], 1.0
	s_delay_alu instid0(VALU_DEP_1) | instskip(SKIP_1) | instid1(VALU_DEP_1)
	v_fmac_f64_e32 v[20:21], v[20:21], v[22:23]
	v_div_scale_f64 v[22:23], vcc_lo, v[8:9], v[6:7], v[8:9]
	v_mul_f64_e32 v[24:25], v[22:23], v[20:21]
	s_delay_alu instid0(VALU_DEP_1) | instskip(NEXT) | instid1(VALU_DEP_1)
	v_fma_f64 v[18:19], -v[18:19], v[24:25], v[22:23]
	v_div_fmas_f64 v[18:19], v[18:19], v[20:21], v[24:25]
	s_delay_alu instid0(VALU_DEP_1)
	v_div_fixup_f64 v[8:9], v[18:19], v[6:7], v[8:9]
	s_and_saveexec_b32 s9, s1
; %bb.119:                              ;   in Loop: Header=BB11_118 Depth=2
	ds_store_b64 v17, v[8:9]
; %bb.120:                              ;   in Loop: Header=BB11_118 Depth=2
	s_or_b32 exec_lo, exec_lo, s9
	s_and_saveexec_b32 s9, s3
	s_cbranch_execz .LBB11_117
; %bb.121:                              ;   in Loop: Header=BB11_118 Depth=2
	v_dual_mov_b32 v17, v12 :: v_dual_mov_b32 v18, v16
	v_mov_b32_e32 v19, v15
	s_mov_b32 s10, 0
.LBB11_122:                             ;   Parent Loop BB11_106 Depth=1
                                        ;     Parent Loop BB11_118 Depth=2
                                        ; =>    This Inner Loop Header: Depth=3
	ds_load_b64 v[20:21], v17
	ds_load_b64 v[22:23], v18
	v_add_nc_u32_e32 v17, 0x210, v17
	v_add_nc_u32_e32 v19, 2, v19
	s_delay_alu instid0(VALU_DEP_1)
	v_cmp_le_i32_e32 vcc_lo, s27, v19
	s_or_b32 s10, vcc_lo, s10
	s_wait_dscnt 0x0
	v_fma_f64 v[20:21], -v[8:9], v[20:21], v[22:23]
	ds_store_b64 v18, v[20:21]
	v_add_nc_u32_e32 v18, 0x210, v18
	s_and_not1_b32 exec_lo, exec_lo, s10
	s_cbranch_execnz .LBB11_122
	s_branch .LBB11_117
.LBB11_123:                             ;   in Loop: Header=BB11_106 Depth=1
	s_or_b32 exec_lo, exec_lo, s7
	s_cbranch_execnz .LBB11_110
.LBB11_124:                             ;   in Loop: Header=BB11_106 Depth=1
	s_add_co_i32 s6, s4, 1
	s_mov_b32 s25, -1
	v_add_nc_u32_e32 v13, 0x110, v13
	v_add_nc_u32_e32 v12, 0x110, v12
	s_cmp_eq_u32 s6, s27
	s_cbranch_scc1 .LBB11_126
.LBB11_125:                             ;   in Loop: Header=BB11_106 Depth=1
	s_mov_b32 s4, s6
	s_branch .LBB11_106
.LBB11_126:
	s_wait_dscnt 0x0
	s_and_saveexec_b32 s1, s0
	s_cbranch_execz .LBB11_136
; %bb.127:
	s_mul_i32 s2, s31, s27
	v_bfe_u32 v4, v0, 10, 10
	v_add_nc_u32_e32 v2, s2, v1
	s_cmp_lg_u32 s28, 0
	s_mov_b32 s3, 0
	s_cselect_b32 s4, -1, 0
	v_cmp_gt_u32_e64 s0, s27, v4
	v_mul_lo_u32 v5, s27, v2
	v_mad_u32_u24 v6, 0x108, v4, v10
	s_lshl_b32 s5, s27, 5
	s_branch .LBB11_129
.LBB11_128:                             ;   in Loop: Header=BB11_129 Depth=1
	s_or_b32 exec_lo, exec_lo, s6
	v_add_nc_u32_e32 v1, 32, v1
	s_delay_alu instid0(VALU_DEP_3) | instskip(SKIP_1) | instid1(VALU_DEP_3)
	v_add_nc_u32_e32 v5, s5, v5
	v_add_nc_u32_e32 v6, 0x100, v6
	v_cmp_le_i32_e32 vcc_lo, s27, v1
	s_or_b32 s3, vcc_lo, s3
	s_delay_alu instid0(SALU_CYCLE_1)
	s_and_not1_b32 exec_lo, exec_lo, s3
	s_cbranch_execz .LBB11_136
.LBB11_129:                             ; =>This Loop Header: Depth=1
                                        ;     Child Loop BB11_132 Depth 2
	s_and_saveexec_b32 s6, s0
	s_cbranch_execz .LBB11_128
; %bb.130:                              ;   in Loop: Header=BB11_129 Depth=1
	v_dual_mov_b32 v7, v6 :: v_dual_mov_b32 v8, v4
	s_mov_b32 s7, 0
	s_branch .LBB11_132
.LBB11_131:                             ;   in Loop: Header=BB11_132 Depth=2
	v_add_nc_u32_e32 v8, 2, v8
	v_add_nc_u32_e32 v7, 0x210, v7
	s_wait_dscnt 0x0
	global_store_b64 v9, v[2:3], s[12:13] scale_offset
	v_cmp_le_i32_e32 vcc_lo, s27, v8
	s_or_b32 s7, vcc_lo, s7
	s_wait_xcnt 0x0
	s_and_not1_b32 exec_lo, exec_lo, s7
	s_cbranch_execz .LBB11_128
.LBB11_132:                             ;   Parent Loop BB11_129 Depth=1
                                        ; =>  This Inner Loop Header: Depth=2
	ds_load_b64 v[2:3], v7
	s_and_b32 vcc_lo, exec_lo, s4
	s_cbranch_vccz .LBB11_134
; %bb.133:                              ;   in Loop: Header=BB11_132 Depth=2
	v_add_nc_u32_e32 v9, s2, v8
	s_delay_alu instid0(VALU_DEP_1)
	v_mad_u32 v9, v9, s27, v1
	s_cbranch_execnz .LBB11_131
	s_branch .LBB11_135
.LBB11_134:                             ;   in Loop: Header=BB11_132 Depth=2
                                        ; implicit-def: $vgpr9
.LBB11_135:                             ;   in Loop: Header=BB11_132 Depth=2
	v_add_nc_u32_e32 v9, v5, v8
	s_branch .LBB11_131
.LBB11_136:
	s_or_b32 exec_lo, exec_lo, s1
.LBB11_137:
	s_add_co_i32 s4, s31, 1
	s_delay_alu instid0(SALU_CYCLE_1)
	s_cmp_ge_i32 s4, s30
	s_cbranch_scc1 .LBB11_189
; %bb.138:
	v_and_b32_e32 v1, 0x3ff, v0
	s_wait_dscnt 0x0
	v_bfe_u32 v4, v0, 10, 10
	s_cmp_lg_u32 s28, 0
	s_movk_i32 s3, 0x2108
	s_cselect_b32 s5, -1, 0
	v_mad_u32 v2, s27, s4, v1
	v_dual_add_nc_u32 v5, 1, v4 :: v_dual_lshlrev_b32 v3, 3, v4
	s_cmp_gt_i32 s27, 0
	v_mul_u32_u24_e32 v7, 0x108, v4
	s_cselect_b32 s6, -1, 0
	s_cmp_lg_u32 s27, 1
	v_dual_lshlrev_b32 v8, 3, v1 :: v_dual_add_nc_u32 v9, 8, v3
	v_mad_u32_u24 v11, 0x108, v1, v3
	s_cselect_b32 s7, -1, 0
	s_and_b32 s8, s27, 0x7ffffffe
	s_bitcmp1_b32 s27, 0
	v_cmp_gt_i32_e64 s0, s27, v1
	v_cmp_le_i32_e64 s1, s27, v1
	v_cmp_gt_i32_e64 s2, s27, v4
	v_mul_lo_u32 v6, s27, v2
	v_add3_u32 v7, v7, v8, 0x2100
	v_add_nc_u32_e32 v8, 0x2108, v11
	v_add_nc_u32_e32 v10, 0x118, v3
	;; [unrolled: 1-line block ×3, first 2 shown]
	v_mad_u32_u24 v12, 0x108, v1, s3
	s_cselect_b32 s9, -1, 0
	s_mul_i32 s10, s27, s27
	s_lshl_b32 s11, s27, 5
	s_branch .LBB11_141
.LBB11_139:                             ;   in Loop: Header=BB11_141 Depth=1
	s_or_b32 exec_lo, exec_lo, s14
.LBB11_140:                             ;   in Loop: Header=BB11_141 Depth=1
	s_delay_alu instid0(SALU_CYCLE_1) | instskip(SKIP_2) | instid1(SALU_CYCLE_1)
	s_or_b32 exec_lo, exec_lo, s3
	v_add_nc_u32_e32 v6, s10, v6
	s_add_co_i32 s4, s4, 1
	s_cmp_ge_i32 s4, s30
	s_cbranch_scc1 .LBB11_189
.LBB11_141:                             ; =>This Loop Header: Depth=1
                                        ;     Child Loop BB11_144 Depth 2
                                        ;       Child Loop BB11_147 Depth 3
                                        ;     Child Loop BB11_155 Depth 2
                                        ;       Child Loop BB11_158 Depth 3
                                        ;         Child Loop BB11_160 Depth 4
                                        ;       Child Loop BB11_163 Depth 3
                                        ;         Child Loop BB11_165 Depth 4
                                        ;     Child Loop BB11_172 Depth 2
                                        ;       Child Loop BB11_174 Depth 3
                                        ;     Child Loop BB11_182 Depth 2
                                        ;       Child Loop BB11_185 Depth 3
	s_wait_storecnt 0x0
	s_and_saveexec_b32 s3, s0
	s_cbranch_execz .LBB11_151
; %bb.142:                              ;   in Loop: Header=BB11_141 Depth=1
	v_dual_mov_b32 v2, v7 :: v_dual_mov_b32 v3, v6
	v_mov_b32_e32 v13, v1
	s_mul_i32 s14, s4, s27
	s_mov_b32 s15, 0
	s_branch .LBB11_144
.LBB11_143:                             ;   in Loop: Header=BB11_144 Depth=2
	s_or_b32 exec_lo, exec_lo, s16
	v_dual_add_nc_u32 v13, 32, v13 :: v_dual_add_nc_u32 v3, s11, v3
	v_add_nc_u32_e32 v2, 0x100, v2
	s_delay_alu instid0(VALU_DEP_2) | instskip(SKIP_1) | instid1(SALU_CYCLE_1)
	v_cmp_le_i32_e32 vcc_lo, s27, v13
	s_or_b32 s15, vcc_lo, s15
	s_and_not1_b32 exec_lo, exec_lo, s15
	s_cbranch_execz .LBB11_151
.LBB11_144:                             ;   Parent Loop BB11_141 Depth=1
                                        ; =>  This Loop Header: Depth=2
                                        ;       Child Loop BB11_147 Depth 3
	s_and_saveexec_b32 s16, s2
	s_cbranch_execz .LBB11_143
; %bb.145:                              ;   in Loop: Header=BB11_144 Depth=2
	v_dual_mov_b32 v14, v2 :: v_dual_mov_b32 v15, v4
	s_mov_b32 s17, 0
	s_branch .LBB11_147
.LBB11_146:                             ;   in Loop: Header=BB11_147 Depth=3
	global_load_b64 v[16:17], v16, s[12:13] scale_offset
	v_add_nc_u32_e32 v15, 2, v15
	s_delay_alu instid0(VALU_DEP_1)
	v_cmp_le_i32_e32 vcc_lo, s27, v15
	s_or_b32 s17, vcc_lo, s17
	s_wait_loadcnt 0x0
	ds_store_b64 v14, v[16:17]
	v_add_nc_u32_e32 v14, 0x210, v14
	s_wait_xcnt 0x0
	s_and_not1_b32 exec_lo, exec_lo, s17
	s_cbranch_execz .LBB11_143
.LBB11_147:                             ;   Parent Loop BB11_141 Depth=1
                                        ;     Parent Loop BB11_144 Depth=2
                                        ; =>    This Inner Loop Header: Depth=3
	s_and_b32 vcc_lo, exec_lo, s5
	s_cbranch_vccz .LBB11_149
; %bb.148:                              ;   in Loop: Header=BB11_147 Depth=3
	v_add_nc_u32_e32 v16, s14, v15
	s_delay_alu instid0(VALU_DEP_1)
	v_mad_u32 v16, v16, s27, v13
	s_cbranch_execnz .LBB11_146
	s_branch .LBB11_150
.LBB11_149:                             ;   in Loop: Header=BB11_147 Depth=3
                                        ; implicit-def: $vgpr16
.LBB11_150:                             ;   in Loop: Header=BB11_147 Depth=3
	v_add_nc_u32_e32 v16, v3, v15
	s_branch .LBB11_146
.LBB11_151:                             ;   in Loop: Header=BB11_141 Depth=1
	s_or_b32 exec_lo, exec_lo, s3
	s_delay_alu instid0(SALU_CYCLE_1)
	s_and_not1_b32 vcc_lo, exec_lo, s6
	s_wait_dscnt 0x0
	s_cbranch_vccnz .LBB11_175
; %bb.152:                              ;   in Loop: Header=BB11_141 Depth=1
	s_and_not1_b32 vcc_lo, exec_lo, s7
	s_mov_b32 s3, 0
	s_cbranch_vccnz .LBB11_166
; %bb.153:                              ;   in Loop: Header=BB11_141 Depth=1
	v_dual_mov_b32 v2, v11 :: v_dual_mov_b32 v3, v10
	v_dual_mov_b32 v13, v9 :: v_dual_mov_b32 v14, v8
	s_mov_b32 s14, 0
	s_branch .LBB11_155
.LBB11_154:                             ;   in Loop: Header=BB11_155 Depth=2
	s_or_b32 exec_lo, exec_lo, s15
	v_add_nc_u32_e32 v14, 16, v14
	v_add_nc_u32_e32 v13, 0x220, v13
	;; [unrolled: 1-line block ×4, first 2 shown]
	s_add_co_i32 s14, s14, 2
	s_mov_b32 s3, s8
	s_cmp_eq_u32 s14, s8
	s_cbranch_scc1 .LBB11_166
.LBB11_155:                             ;   Parent Loop BB11_141 Depth=1
                                        ; =>  This Loop Header: Depth=2
                                        ;       Child Loop BB11_158 Depth 3
                                        ;         Child Loop BB11_160 Depth 4
                                        ;       Child Loop BB11_163 Depth 3
                                        ;         Child Loop BB11_165 Depth 4
	s_and_saveexec_b32 s15, s0
	s_cbranch_execz .LBB11_154
; %bb.156:                              ;   in Loop: Header=BB11_155 Depth=2
	v_dual_mov_b32 v16, v14 :: v_dual_add_nc_u32 v15, s14, v5
	v_mov_b32_e32 v17, v1
	s_lshl_b32 s16, s14, 3
	s_mov_b32 s17, 0
	s_addk_co_i32 s16, 0x2100
	v_cmp_gt_i32_e32 vcc_lo, s27, v15
	s_branch .LBB11_158
.LBB11_157:                             ;   in Loop: Header=BB11_158 Depth=3
	s_or_b32 exec_lo, exec_lo, s28
	v_add_nc_u32_e32 v17, 32, v17
	v_add_nc_u32_e32 v16, 0x2100, v16
	s_delay_alu instid0(VALU_DEP_2) | instskip(SKIP_1) | instid1(SALU_CYCLE_1)
	v_cmp_le_i32_e64 s3, s27, v17
	s_or_b32 s17, s3, s17
	s_and_not1_b32 exec_lo, exec_lo, s17
	s_cbranch_execz .LBB11_161
.LBB11_158:                             ;   Parent Loop BB11_141 Depth=1
                                        ;     Parent Loop BB11_155 Depth=2
                                        ; =>    This Loop Header: Depth=3
                                        ;         Child Loop BB11_160 Depth 4
	s_and_saveexec_b32 s28, vcc_lo
	s_cbranch_execz .LBB11_157
; %bb.159:                              ;   in Loop: Header=BB11_158 Depth=3
	v_mad_u32 v18, 0x108, v17, s16
	v_dual_mov_b32 v19, v13 :: v_dual_mov_b32 v20, v16
	v_mov_b32_e32 v21, v15
	s_mov_b32 s29, 0
.LBB11_160:                             ;   Parent Loop BB11_141 Depth=1
                                        ;     Parent Loop BB11_155 Depth=2
                                        ;       Parent Loop BB11_158 Depth=3
                                        ; =>      This Inner Loop Header: Depth=4
	ds_load_b64 v[22:23], v19
	ds_load_b64 v[24:25], v18
	;; [unrolled: 1-line block ×3, first 2 shown]
	v_dual_add_nc_u32 v21, 2, v21 :: v_dual_add_nc_u32 v19, 16, v19
	s_wait_dscnt 0x0
	v_fma_f64 v[22:23], -v[22:23], v[24:25], v[26:27]
	ds_store_b64 v20, v[22:23]
	v_add_nc_u32_e32 v20, 16, v20
	v_cmp_le_i32_e64 s3, s27, v21
	s_or_b32 s29, s3, s29
	s_delay_alu instid0(SALU_CYCLE_1)
	s_and_not1_b32 exec_lo, exec_lo, s29
	s_cbranch_execnz .LBB11_160
	s_branch .LBB11_157
.LBB11_161:                             ;   in Loop: Header=BB11_155 Depth=2
	s_or_b32 exec_lo, exec_lo, s17
	v_add3_u32 v15, v5, s14, 1
	v_dual_mov_b32 v16, v2 :: v_dual_mov_b32 v17, v1
	s_mov_b32 s17, 0
	s_delay_alu instid0(VALU_DEP_2)
	v_cmp_gt_i32_e32 vcc_lo, s27, v15
	s_branch .LBB11_163
.LBB11_162:                             ;   in Loop: Header=BB11_163 Depth=3
	s_or_b32 exec_lo, exec_lo, s28
	v_add_nc_u32_e32 v17, 32, v17
	v_add_nc_u32_e32 v16, 0x2100, v16
	s_delay_alu instid0(VALU_DEP_2) | instskip(SKIP_1) | instid1(SALU_CYCLE_1)
	v_cmp_le_i32_e64 s3, s27, v17
	s_or_b32 s17, s3, s17
	s_and_not1_b32 exec_lo, exec_lo, s17
	s_cbranch_execz .LBB11_154
.LBB11_163:                             ;   Parent Loop BB11_141 Depth=1
                                        ;     Parent Loop BB11_155 Depth=2
                                        ; =>    This Loop Header: Depth=3
                                        ;         Child Loop BB11_165 Depth 4
	s_and_saveexec_b32 s28, vcc_lo
	s_cbranch_execz .LBB11_162
; %bb.164:                              ;   in Loop: Header=BB11_163 Depth=3
	v_mad_u32 v18, 0x108, v17, s16
	v_dual_mov_b32 v19, v16 :: v_dual_mov_b32 v20, v3
	v_mov_b32_e32 v21, v15
	s_mov_b32 s29, 0
.LBB11_165:                             ;   Parent Loop BB11_141 Depth=1
                                        ;     Parent Loop BB11_155 Depth=2
                                        ;       Parent Loop BB11_163 Depth=3
                                        ; =>      This Inner Loop Header: Depth=4
	ds_load_b64 v[22:23], v20
	ds_load_b64 v[24:25], v18 offset:8
	ds_load_b64 v[26:27], v19
	v_dual_add_nc_u32 v21, 2, v21 :: v_dual_add_nc_u32 v20, 16, v20
	s_delay_alu instid0(VALU_DEP_1)
	v_cmp_le_i32_e64 s3, s27, v21
	s_or_b32 s29, s3, s29
	s_wait_dscnt 0x0
	v_fma_f64 v[22:23], -v[22:23], v[24:25], v[26:27]
	ds_store_b64 v19, v[22:23]
	v_add_nc_u32_e32 v19, 16, v19
	s_and_not1_b32 exec_lo, exec_lo, s29
	s_cbranch_execnz .LBB11_165
	s_branch .LBB11_162
.LBB11_166:                             ;   in Loop: Header=BB11_141 Depth=1
	s_and_not1_b32 vcc_lo, exec_lo, s9
	s_mov_b32 s15, -1
	s_cbranch_vccnz .LBB11_176
; %bb.167:                              ;   in Loop: Header=BB11_141 Depth=1
	s_and_saveexec_b32 s14, s1
	s_delay_alu instid0(SALU_CYCLE_1)
	s_xor_b32 s14, exec_lo, s14
	s_cbranch_execz .LBB11_169
; %bb.168:                              ;   in Loop: Header=BB11_141 Depth=1
	s_wait_dscnt 0x0
.LBB11_169:                             ;   in Loop: Header=BB11_141 Depth=1
	s_or_saveexec_b32 s14, s14
	s_mov_b32 s15, 0
	s_xor_b32 exec_lo, exec_lo, s14
	s_cbranch_execz .LBB11_178
; %bb.170:                              ;   in Loop: Header=BB11_141 Depth=1
	v_mad_u32 v3, 0x110, s3, v9
	v_dual_add_nc_u32 v2, s3, v5 :: v_dual_add_nc_u32 v13, s3, v4
	v_mov_b32_e32 v14, v1
	s_lshl_b32 s16, s3, 3
	s_delay_alu instid0(SALU_CYCLE_1) | instskip(NEXT) | instid1(VALU_DEP_2)
	s_addk_co_i32 s16, 0x2100
	v_lshl_add_u32 v13, v13, 3, v12
	v_cmp_gt_i32_e32 vcc_lo, s27, v2
	s_branch .LBB11_172
.LBB11_171:                             ;   in Loop: Header=BB11_172 Depth=2
	s_or_b32 exec_lo, exec_lo, s17
	v_add_nc_u32_e32 v14, 32, v14
	v_add_nc_u32_e32 v13, 0x2100, v13
	s_delay_alu instid0(VALU_DEP_2) | instskip(SKIP_1) | instid1(SALU_CYCLE_1)
	v_cmp_le_i32_e64 s3, s27, v14
	s_or_b32 s15, s3, s15
	s_and_not1_b32 exec_lo, exec_lo, s15
	s_cbranch_execz .LBB11_177
.LBB11_172:                             ;   Parent Loop BB11_141 Depth=1
                                        ; =>  This Loop Header: Depth=2
                                        ;       Child Loop BB11_174 Depth 3
	s_and_saveexec_b32 s17, vcc_lo
	s_cbranch_execz .LBB11_171
; %bb.173:                              ;   in Loop: Header=BB11_172 Depth=2
	v_mad_u32 v15, 0x108, v14, s16
	v_dual_mov_b32 v16, v3 :: v_dual_mov_b32 v17, v13
	v_mov_b32_e32 v18, v2
	s_mov_b32 s28, 0
.LBB11_174:                             ;   Parent Loop BB11_141 Depth=1
                                        ;     Parent Loop BB11_172 Depth=2
                                        ; =>    This Inner Loop Header: Depth=3
	ds_load_b64 v[20:21], v16
	ds_load_b64 v[22:23], v15
	;; [unrolled: 1-line block ×3, first 2 shown]
	v_dual_add_nc_u32 v18, 2, v18 :: v_dual_add_nc_u32 v16, 16, v16
	s_delay_alu instid0(VALU_DEP_1)
	v_cmp_le_i32_e64 s3, s27, v18
	s_or_b32 s28, s3, s28
	s_wait_dscnt 0x0
	v_fma_f64 v[20:21], -v[20:21], v[22:23], v[24:25]
	ds_store_b64 v17, v[20:21]
	v_add_nc_u32_e32 v17, 16, v17
	s_and_not1_b32 exec_lo, exec_lo, s28
	s_cbranch_execnz .LBB11_174
	s_branch .LBB11_171
.LBB11_175:                             ;   in Loop: Header=BB11_141 Depth=1
	s_mov_b32 s15, -1
.LBB11_176:                             ;   in Loop: Header=BB11_141 Depth=1
	s_delay_alu instid0(SALU_CYCLE_1) | instskip(NEXT) | instid1(SALU_CYCLE_1)
	s_and_saveexec_b32 s3, s15
	s_xor_b32 s3, exec_lo, s3
	s_cbranch_execz .LBB11_140
	s_branch .LBB11_179
.LBB11_177:                             ;   in Loop: Header=BB11_141 Depth=1
	s_or_b32 exec_lo, exec_lo, s15
	s_delay_alu instid0(SALU_CYCLE_1)
	s_mov_b32 s15, exec_lo
.LBB11_178:                             ;   in Loop: Header=BB11_141 Depth=1
	s_or_b32 exec_lo, exec_lo, s14
	s_and_saveexec_b32 s3, s15
	s_delay_alu instid0(SALU_CYCLE_1)
	s_xor_b32 s3, exec_lo, s3
	s_cbranch_execz .LBB11_140
.LBB11_179:                             ;   in Loop: Header=BB11_141 Depth=1
	s_wait_dscnt 0x0
	s_and_saveexec_b32 s14, s0
	s_cbranch_execz .LBB11_139
; %bb.180:                              ;   in Loop: Header=BB11_141 Depth=1
	v_dual_mov_b32 v13, v7 :: v_dual_mov_b32 v14, v6
	v_mov_b32_e32 v15, v1
	s_mul_i32 s15, s4, s27
	s_mov_b32 s16, 0
	s_branch .LBB11_182
.LBB11_181:                             ;   in Loop: Header=BB11_182 Depth=2
	s_or_b32 exec_lo, exec_lo, s17
	v_dual_add_nc_u32 v15, 32, v15 :: v_dual_add_nc_u32 v14, s11, v14
	v_add_nc_u32_e32 v13, 0x100, v13
	s_delay_alu instid0(VALU_DEP_2) | instskip(SKIP_1) | instid1(SALU_CYCLE_1)
	v_cmp_le_i32_e32 vcc_lo, s27, v15
	s_or_b32 s16, vcc_lo, s16
	s_and_not1_b32 exec_lo, exec_lo, s16
	s_cbranch_execz .LBB11_139
.LBB11_182:                             ;   Parent Loop BB11_141 Depth=1
                                        ; =>  This Loop Header: Depth=2
                                        ;       Child Loop BB11_185 Depth 3
	s_and_saveexec_b32 s17, s2
	s_cbranch_execz .LBB11_181
; %bb.183:                              ;   in Loop: Header=BB11_182 Depth=2
	v_dual_mov_b32 v16, v13 :: v_dual_mov_b32 v17, v4
	s_mov_b32 s28, 0
	s_branch .LBB11_185
.LBB11_184:                             ;   in Loop: Header=BB11_185 Depth=3
	v_add_nc_u32_e32 v17, 2, v17
	v_add_nc_u32_e32 v16, 0x210, v16
	s_wait_dscnt 0x0
	global_store_b64 v18, v[2:3], s[12:13] scale_offset
	v_cmp_le_i32_e32 vcc_lo, s27, v17
	s_or_b32 s28, vcc_lo, s28
	s_wait_xcnt 0x0
	s_and_not1_b32 exec_lo, exec_lo, s28
	s_cbranch_execz .LBB11_181
.LBB11_185:                             ;   Parent Loop BB11_141 Depth=1
                                        ;     Parent Loop BB11_182 Depth=2
                                        ; =>    This Inner Loop Header: Depth=3
	ds_load_b64 v[2:3], v16
	s_and_b32 vcc_lo, exec_lo, s5
	s_cbranch_vccz .LBB11_187
; %bb.186:                              ;   in Loop: Header=BB11_185 Depth=3
	v_add_nc_u32_e32 v18, s15, v17
	s_delay_alu instid0(VALU_DEP_1)
	v_mad_u32 v18, v18, s27, v15
	s_cbranch_execnz .LBB11_184
	s_branch .LBB11_188
.LBB11_187:                             ;   in Loop: Header=BB11_185 Depth=3
                                        ; implicit-def: $vgpr18
.LBB11_188:                             ;   in Loop: Header=BB11_185 Depth=3
	v_add_nc_u32_e32 v18, v14, v17
	s_branch .LBB11_184
.LBB11_189:
	v_and_b32_e32 v0, 0xfffff, v0
	s_mov_b32 s0, exec_lo
	s_delay_alu instid0(VALU_DEP_1)
	v_cmpx_eq_u32_e32 0, v0
	s_cbranch_execz .LBB11_193
; %bb.190:
	v_dual_mov_b32 v0, 0 :: v_dual_mov_b32 v1, 1
	s_add_nc_u64 s[0:1], s[20:21], s[22:23]
	s_and_not1_b32 vcc_lo, exec_lo, s25
	global_wb scope:SCOPE_DEV
	s_wait_storecnt 0x0
	s_wait_loadcnt_dscnt 0x0
	global_store_b32 v0, v1, s[0:1] scope:SCOPE_DEV
	s_cbranch_vccnz .LBB11_193
; %bb.191:
	s_wait_xcnt 0x0
	v_mbcnt_lo_u32_b32 v0, exec_lo, 0
	s_delay_alu instid0(VALU_DEP_1)
	v_cmp_eq_u32_e32 vcc_lo, 0, v0
	s_and_b32 exec_lo, exec_lo, vcc_lo
	s_cbranch_execz .LBB11_193
; %bb.192:
	s_add_co_i32 s0, s26, s24
	s_delay_alu instid0(SALU_CYCLE_1)
	v_dual_mov_b32 v0, 0 :: v_dual_mov_b32 v1, s0
	global_atomic_min_i32 v0, v1, s[18:19] scope:SCOPE_DEV
.LBB11_193:
	s_endpgm
	.section	.rodata,"a",@progbits
	.p2align	6, 0x0
	.amdhsa_kernel _ZN9rocsparseL12bsrilu0_9_32ILj64ELj64ELj32EdEEv20rocsparse_direction_iPKiS3_PT2_S3_iPiS3_S6_21rocsparse_index_base_imNS_24const_host_device_scalarIfEENS8_IdEENS8_IS4_EEb
		.amdhsa_group_segment_fixed_size 16896
		.amdhsa_private_segment_fixed_size 0
		.amdhsa_kernarg_size 116
		.amdhsa_user_sgpr_count 2
		.amdhsa_user_sgpr_dispatch_ptr 0
		.amdhsa_user_sgpr_queue_ptr 0
		.amdhsa_user_sgpr_kernarg_segment_ptr 1
		.amdhsa_user_sgpr_dispatch_id 0
		.amdhsa_user_sgpr_kernarg_preload_length 0
		.amdhsa_user_sgpr_kernarg_preload_offset 0
		.amdhsa_user_sgpr_private_segment_size 0
		.amdhsa_wavefront_size32 1
		.amdhsa_uses_dynamic_stack 0
		.amdhsa_enable_private_segment 0
		.amdhsa_system_sgpr_workgroup_id_x 1
		.amdhsa_system_sgpr_workgroup_id_y 0
		.amdhsa_system_sgpr_workgroup_id_z 0
		.amdhsa_system_sgpr_workgroup_info 0
		.amdhsa_system_vgpr_workitem_id 1
		.amdhsa_next_free_vgpr 113
		.amdhsa_next_free_sgpr 47
		.amdhsa_named_barrier_count 0
		.amdhsa_reserve_vcc 1
		.amdhsa_float_round_mode_32 0
		.amdhsa_float_round_mode_16_64 0
		.amdhsa_float_denorm_mode_32 3
		.amdhsa_float_denorm_mode_16_64 3
		.amdhsa_fp16_overflow 0
		.amdhsa_memory_ordered 1
		.amdhsa_forward_progress 1
		.amdhsa_inst_pref_size 44
		.amdhsa_round_robin_scheduling 0
		.amdhsa_exception_fp_ieee_invalid_op 0
		.amdhsa_exception_fp_denorm_src 0
		.amdhsa_exception_fp_ieee_div_zero 0
		.amdhsa_exception_fp_ieee_overflow 0
		.amdhsa_exception_fp_ieee_underflow 0
		.amdhsa_exception_fp_ieee_inexact 0
		.amdhsa_exception_int_div_zero 0
	.end_amdhsa_kernel
	.section	.text._ZN9rocsparseL12bsrilu0_9_32ILj64ELj64ELj32EdEEv20rocsparse_direction_iPKiS3_PT2_S3_iPiS3_S6_21rocsparse_index_base_imNS_24const_host_device_scalarIfEENS8_IdEENS8_IS4_EEb,"axG",@progbits,_ZN9rocsparseL12bsrilu0_9_32ILj64ELj64ELj32EdEEv20rocsparse_direction_iPKiS3_PT2_S3_iPiS3_S6_21rocsparse_index_base_imNS_24const_host_device_scalarIfEENS8_IdEENS8_IS4_EEb,comdat
.Lfunc_end11:
	.size	_ZN9rocsparseL12bsrilu0_9_32ILj64ELj64ELj32EdEEv20rocsparse_direction_iPKiS3_PT2_S3_iPiS3_S6_21rocsparse_index_base_imNS_24const_host_device_scalarIfEENS8_IdEENS8_IS4_EEb, .Lfunc_end11-_ZN9rocsparseL12bsrilu0_9_32ILj64ELj64ELj32EdEEv20rocsparse_direction_iPKiS3_PT2_S3_iPiS3_S6_21rocsparse_index_base_imNS_24const_host_device_scalarIfEENS8_IdEENS8_IS4_EEb
                                        ; -- End function
	.set _ZN9rocsparseL12bsrilu0_9_32ILj64ELj64ELj32EdEEv20rocsparse_direction_iPKiS3_PT2_S3_iPiS3_S6_21rocsparse_index_base_imNS_24const_host_device_scalarIfEENS8_IdEENS8_IS4_EEb.num_vgpr, 38
	.set _ZN9rocsparseL12bsrilu0_9_32ILj64ELj64ELj32EdEEv20rocsparse_direction_iPKiS3_PT2_S3_iPiS3_S6_21rocsparse_index_base_imNS_24const_host_device_scalarIfEENS8_IdEENS8_IS4_EEb.num_agpr, 0
	.set _ZN9rocsparseL12bsrilu0_9_32ILj64ELj64ELj32EdEEv20rocsparse_direction_iPKiS3_PT2_S3_iPiS3_S6_21rocsparse_index_base_imNS_24const_host_device_scalarIfEENS8_IdEENS8_IS4_EEb.numbered_sgpr, 47
	.set _ZN9rocsparseL12bsrilu0_9_32ILj64ELj64ELj32EdEEv20rocsparse_direction_iPKiS3_PT2_S3_iPiS3_S6_21rocsparse_index_base_imNS_24const_host_device_scalarIfEENS8_IdEENS8_IS4_EEb.num_named_barrier, 0
	.set _ZN9rocsparseL12bsrilu0_9_32ILj64ELj64ELj32EdEEv20rocsparse_direction_iPKiS3_PT2_S3_iPiS3_S6_21rocsparse_index_base_imNS_24const_host_device_scalarIfEENS8_IdEENS8_IS4_EEb.private_seg_size, 0
	.set _ZN9rocsparseL12bsrilu0_9_32ILj64ELj64ELj32EdEEv20rocsparse_direction_iPKiS3_PT2_S3_iPiS3_S6_21rocsparse_index_base_imNS_24const_host_device_scalarIfEENS8_IdEENS8_IS4_EEb.uses_vcc, 1
	.set _ZN9rocsparseL12bsrilu0_9_32ILj64ELj64ELj32EdEEv20rocsparse_direction_iPKiS3_PT2_S3_iPiS3_S6_21rocsparse_index_base_imNS_24const_host_device_scalarIfEENS8_IdEENS8_IS4_EEb.uses_flat_scratch, 0
	.set _ZN9rocsparseL12bsrilu0_9_32ILj64ELj64ELj32EdEEv20rocsparse_direction_iPKiS3_PT2_S3_iPiS3_S6_21rocsparse_index_base_imNS_24const_host_device_scalarIfEENS8_IdEENS8_IS4_EEb.has_dyn_sized_stack, 0
	.set _ZN9rocsparseL12bsrilu0_9_32ILj64ELj64ELj32EdEEv20rocsparse_direction_iPKiS3_PT2_S3_iPiS3_S6_21rocsparse_index_base_imNS_24const_host_device_scalarIfEENS8_IdEENS8_IS4_EEb.has_recursion, 0
	.set _ZN9rocsparseL12bsrilu0_9_32ILj64ELj64ELj32EdEEv20rocsparse_direction_iPKiS3_PT2_S3_iPiS3_S6_21rocsparse_index_base_imNS_24const_host_device_scalarIfEENS8_IdEENS8_IS4_EEb.has_indirect_call, 0
	.section	.AMDGPU.csdata,"",@progbits
; Kernel info:
; codeLenInByte = 5512
; TotalNumSgprs: 49
; NumVgprs: 38
; ScratchSize: 0
; MemoryBound: 0
; FloatMode: 240
; IeeeMode: 1
; LDSByteSize: 16896 bytes/workgroup (compile time only)
; SGPRBlocks: 0
; VGPRBlocks: 7
; NumSGPRsForWavesPerEU: 49
; NumVGPRsForWavesPerEU: 113
; NamedBarCnt: 0
; Occupancy: 8
; WaveLimiterHint : 1
; COMPUTE_PGM_RSRC2:SCRATCH_EN: 0
; COMPUTE_PGM_RSRC2:USER_SGPR: 2
; COMPUTE_PGM_RSRC2:TRAP_HANDLER: 0
; COMPUTE_PGM_RSRC2:TGID_X_EN: 1
; COMPUTE_PGM_RSRC2:TGID_Y_EN: 0
; COMPUTE_PGM_RSRC2:TGID_Z_EN: 0
; COMPUTE_PGM_RSRC2:TIDIG_COMP_CNT: 1
	.section	.text._ZN9rocsparseL13bsrilu0_33_64ILj64ELj64ELj64EdEEv20rocsparse_direction_iPKiS3_PT2_S3_iPiS3_S6_21rocsparse_index_base_imNS_24const_host_device_scalarIfEENS8_IdEENS8_IS4_EEb,"axG",@progbits,_ZN9rocsparseL13bsrilu0_33_64ILj64ELj64ELj64EdEEv20rocsparse_direction_iPKiS3_PT2_S3_iPiS3_S6_21rocsparse_index_base_imNS_24const_host_device_scalarIfEENS8_IdEENS8_IS4_EEb,comdat
	.globl	_ZN9rocsparseL13bsrilu0_33_64ILj64ELj64ELj64EdEEv20rocsparse_direction_iPKiS3_PT2_S3_iPiS3_S6_21rocsparse_index_base_imNS_24const_host_device_scalarIfEENS8_IdEENS8_IS4_EEb ; -- Begin function _ZN9rocsparseL13bsrilu0_33_64ILj64ELj64ELj64EdEEv20rocsparse_direction_iPKiS3_PT2_S3_iPiS3_S6_21rocsparse_index_base_imNS_24const_host_device_scalarIfEENS8_IdEENS8_IS4_EEb
	.p2align	8
	.type	_ZN9rocsparseL13bsrilu0_33_64ILj64ELj64ELj64EdEEv20rocsparse_direction_iPKiS3_PT2_S3_iPiS3_S6_21rocsparse_index_base_imNS_24const_host_device_scalarIfEENS8_IdEENS8_IS4_EEb,@function
_ZN9rocsparseL13bsrilu0_33_64ILj64ELj64ELj64EdEEv20rocsparse_direction_iPKiS3_PT2_S3_iPiS3_S6_21rocsparse_index_base_imNS_24const_host_device_scalarIfEENS8_IdEENS8_IS4_EEb: ; @_ZN9rocsparseL13bsrilu0_33_64ILj64ELj64ELj64EdEEv20rocsparse_direction_iPKiS3_PT2_S3_iPiS3_S6_21rocsparse_index_base_imNS_24const_host_device_scalarIfEENS8_IdEENS8_IS4_EEb
; %bb.0:
	s_clause 0x2
	s_load_b32 s2, s[0:1], 0x70
	s_load_b64 s[24:25], s[0:1], 0x48
	s_load_b256 s[16:23], s[0:1], 0x50
	s_wait_kmcnt 0x0
	s_bitcmp1_b32 s2, 0
	s_cselect_b32 s2, -1, 0
	s_cmp_eq_u32 s25, 0
	s_cselect_b32 s4, -1, 0
	s_cmp_lg_u32 s25, 0
	s_cselect_b32 s31, -1, 0
	s_or_b32 s6, s4, s2
	s_delay_alu instid0(SALU_CYCLE_1)
	s_xor_b32 s5, s6, -1
	s_and_b32 s2, s4, exec_lo
	s_cselect_b32 s3, 0, s21
	s_cselect_b32 s2, 0, s20
	;; [unrolled: 1-line block ×3, first 2 shown]
	s_and_b32 vcc_lo, exec_lo, s6
	s_cbranch_vccnz .LBB12_2
; %bb.1:
	s_load_b32 s33, s[18:19], 0x0
	s_mov_b64 s[2:3], s[20:21]
.LBB12_2:
	s_delay_alu instid0(SALU_CYCLE_1)
	v_mov_b64_e32 v[4:5], s[2:3]
	v_cndmask_b32_e64 v1, 0, 1, s5
	s_and_not1_b32 vcc_lo, exec_lo, s5
	s_cbranch_vccnz .LBB12_4
; %bb.3:
	v_mov_b32_e32 v2, 0
	flat_load_b64 v[4:5], v2, s[20:21]
.LBB12_4:
	s_and_b32 s2, s4, exec_lo
	s_cselect_b32 s3, 0, s23
	s_cselect_b32 s2, 0, s22
	v_cmp_ne_u32_e32 vcc_lo, 1, v1
	s_wait_xcnt 0x0
	v_mov_b64_e32 v[2:3], s[2:3]
	s_cbranch_vccnz .LBB12_6
; %bb.5:
	v_mov_b32_e32 v1, 0
	flat_load_b64 v[2:3], v1, s[22:23]
.LBB12_6:
	s_wait_xcnt 0x0
	s_load_b128 s[20:23], s[0:1], 0x30
	s_bfe_u32 s2, ttmp6, 0x4000c
	s_and_b32 s3, ttmp6, 15
	s_add_co_i32 s2, s2, 1
	s_getreg_b32 s4, hwreg(HW_REG_IB_STS2, 6, 4)
	s_mul_i32 s2, ttmp9, s2
	s_delay_alu instid0(SALU_CYCLE_1)
	s_add_co_i32 s3, s3, s2
	s_cmp_eq_u32 s4, 0
	s_cselect_b32 s2, ttmp9, s3
	s_load_b64 s[18:19], s[0:1], 0x40
	s_wait_kmcnt 0x0
	s_load_b32 s26, s[22:23], s2 offset:0x0 scale_offset
	s_load_b256 s[8:15], s[0:1], 0x8
	s_wait_kmcnt 0x0
	s_ashr_i32 s27, s26, 31
	s_delay_alu instid0(SALU_CYCLE_1) | instskip(NEXT) | instid1(SALU_CYCLE_1)
	s_lshl_b64 s[22:23], s[26:27], 2
	s_add_nc_u64 s[2:3], s[14:15], s[22:23]
	s_load_b32 s30, s[2:3], 0x0
	s_wait_kmcnt 0x0
	s_cmp_eq_u32 s30, -1
	s_cbranch_scc1 .LBB12_100
; %bb.7:
	s_add_nc_u64 s[2:3], s[8:9], s[22:23]
	s_mov_b32 s7, 0
	s_load_b64 s[4:5], s[2:3], 0x0
	s_clause 0x1
	s_load_b64 s[28:29], s[0:1], 0x0
	s_load_b32 s25, s[0:1], 0x28
	s_wait_kmcnt 0x0
	s_sub_co_i32 s34, s4, s24
	s_sub_co_i32 s27, s5, s24
	s_cmp_ge_i32 s34, s30
	s_cbranch_scc1 .LBB12_89
; %bb.8:
	v_and_b32_e32 v1, 0x3ff, v0
	v_bfe_u32 v18, v0, 10, 10
	s_cmp_lg_u32 s28, 0
	s_mov_b32 s35, 0
	s_cselect_b32 s36, -1, 0
	v_mad_u32 v7, s25, s34, v1
	v_lshl_or_b32 v6, v18, 6, v1
	v_dual_mov_b32 v19, 0 :: v_dual_lshlrev_b32 v8, 3, v1
	v_add_nc_u32_e32 v21, 1, v18
	v_cmp_gt_i32_e64 s0, s25, v1
	s_delay_alu instid0(VALU_DEP_4)
	v_add_nc_u32_e32 v6, s34, v6
	v_cmp_le_i32_e64 s1, s25, v1
	v_cmp_gt_i32_e64 s2, s25, v18
	v_cmp_eq_u32_e64 s3, 0, v18
	v_mul_u32_u24_e32 v22, 0x208, v18
	v_mul_lo_u32 v20, s25, v7
	v_ashrrev_i32_e32 v7, 31, v6
	v_mad_u32_u24 v23, 0x208, v18, 0x208
	v_mad_u32_u24 v24, 0x208, v18, v8
	v_cmp_gt_i32_e64 s4, s27, v6
	s_cmp_gt_i32 s25, 0
	v_lshl_add_u64 v[8:9], v[6:7], 2, s[10:11]
	s_cselect_b32 s37, -1, 0
	s_add_co_i32 s29, s29, 1
	s_lshl_b32 s38, s25, 6
	s_mul_i32 s39, s25, s25
	v_add_nc_u32_e32 v7, v21, v20
.LBB12_9:                               ; =>This Loop Header: Depth=1
                                        ;     Child Loop BB12_11 Depth 2
                                        ;     Child Loop BB12_15 Depth 2
                                        ;       Child Loop BB12_18 Depth 3
                                        ;     Child Loop BB12_25 Depth 2
                                        ;       Child Loop BB12_28 Depth 3
                                        ;         Child Loop BB12_39 Depth 4
                                        ;     Child Loop BB12_50 Depth 2
                                        ;       Child Loop BB12_55 Depth 3
                                        ;       Child Loop BB12_64 Depth 3
                                        ;         Child Loop BB12_67 Depth 4
                                        ;       Child Loop BB12_73 Depth 3
                                        ;         Child Loop BB12_76 Depth 4
                                        ;           Child Loop BB12_78 Depth 5
	s_wait_dscnt 0x0
	s_wait_xcnt 0x0
	v_mov_b32_e32 v10, s34
	s_mov_b32 s7, -1
	global_load_b32 v10, v10, s[10:11] scale_offset
	s_wait_loadcnt 0x0
	v_readfirstlane_b32 s5, v10
	s_sub_co_i32 s6, s5, s24
	s_wait_xcnt 0x0
	v_mov_b32_e32 v10, s6
	global_load_b32 v10, v10, s[14:15] scale_offset
	s_wait_loadcnt 0x0
	v_cmp_eq_u32_e32 vcc_lo, -1, v10
	v_readfirstlane_b32 s40, v10
	v_cmp_ne_u32_e64 s5, -1, v10
	s_cbranch_vccnz .LBB12_87
; %bb.10:                               ;   in Loop: Header=BB12_9 Depth=1
	s_ashr_i32 s7, s6, 31
	s_delay_alu instid0(SALU_CYCLE_1) | instskip(NEXT) | instid1(SALU_CYCLE_1)
	s_lshl_b64 s[6:7], s[6:7], 2
	s_add_nc_u64 s[42:43], s[8:9], s[6:7]
	s_add_nc_u64 s[6:7], s[20:21], s[6:7]
	global_load_b32 v10, v19, s[42:43] offset:4
	s_wait_loadcnt 0x0
	v_readfirstlane_b32 s41, v10
.LBB12_11:                              ;   Parent Loop BB12_9 Depth=1
                                        ; =>  This Inner Loop Header: Depth=2
	global_load_b32 v10, v19, s[6:7] scope:SCOPE_DEV
	s_wait_loadcnt 0x0
	v_cmp_eq_u32_e32 vcc_lo, 0, v10
	s_cbranch_vccnz .LBB12_11
; %bb.12:                               ;   in Loop: Header=BB12_9 Depth=1
	s_wait_dscnt 0x0
	global_inv scope:SCOPE_DEV
	s_wait_xcnt 0x0
	s_and_saveexec_b32 s6, s0
	s_cbranch_execz .LBB12_22
; %bb.13:                               ;   in Loop: Header=BB12_9 Depth=1
	s_mul_i32 s7, s40, s25
	s_delay_alu instid0(SALU_CYCLE_1) | instskip(SKIP_2) | instid1(VALU_DEP_2)
	v_dual_mov_b32 v12, v1 :: v_dual_add_nc_u32 v10, s7, v1
	v_mov_b32_e32 v11, v24
	s_mov_b32 s42, 0
	v_mul_lo_u32 v10, s25, v10
	s_branch .LBB12_15
.LBB12_14:                              ;   in Loop: Header=BB12_15 Depth=2
	s_or_b32 exec_lo, exec_lo, s43
	s_delay_alu instid0(VALU_DEP_1) | instskip(SKIP_1) | instid1(VALU_DEP_2)
	v_dual_add_nc_u32 v12, 64, v12 :: v_dual_add_nc_u32 v10, s38, v10
	v_add_nc_u32_e32 v11, 0x200, v11
	v_cmp_le_i32_e32 vcc_lo, s25, v12
	s_or_b32 s42, vcc_lo, s42
	s_delay_alu instid0(SALU_CYCLE_1)
	s_and_not1_b32 exec_lo, exec_lo, s42
	s_cbranch_execz .LBB12_22
.LBB12_15:                              ;   Parent Loop BB12_9 Depth=1
                                        ; =>  This Loop Header: Depth=2
                                        ;       Child Loop BB12_18 Depth 3
	s_and_saveexec_b32 s43, s2
	s_cbranch_execz .LBB12_14
; %bb.16:                               ;   in Loop: Header=BB12_15 Depth=2
	v_dual_mov_b32 v13, v11 :: v_dual_mov_b32 v14, v18
	s_mov_b32 s44, 0
	s_branch .LBB12_18
.LBB12_17:                              ;   in Loop: Header=BB12_18 Depth=3
	global_load_b64 v[16:17], v15, s[12:13] scale_offset
	v_add_nc_u32_e32 v14, 1, v14
	s_delay_alu instid0(VALU_DEP_1)
	v_cmp_le_i32_e32 vcc_lo, s25, v14
	s_or_b32 s44, vcc_lo, s44
	s_wait_loadcnt 0x0
	ds_store_b64 v13, v[16:17]
	v_add_nc_u32_e32 v13, 0x208, v13
	s_wait_xcnt 0x0
	s_and_not1_b32 exec_lo, exec_lo, s44
	s_cbranch_execz .LBB12_14
.LBB12_18:                              ;   Parent Loop BB12_9 Depth=1
                                        ;     Parent Loop BB12_15 Depth=2
                                        ; =>    This Inner Loop Header: Depth=3
	s_and_b32 vcc_lo, exec_lo, s36
	s_cbranch_vccz .LBB12_20
; %bb.19:                               ;   in Loop: Header=BB12_18 Depth=3
	v_add_nc_u32_e32 v15, s7, v14
	s_delay_alu instid0(VALU_DEP_1)
	v_mad_u32 v15, v15, s25, v12
	s_cbranch_execnz .LBB12_17
	s_branch .LBB12_21
.LBB12_20:                              ;   in Loop: Header=BB12_18 Depth=3
                                        ; implicit-def: $vgpr15
.LBB12_21:                              ;   in Loop: Header=BB12_18 Depth=3
	s_delay_alu instid0(VALU_DEP_2)
	v_add_nc_u32_e32 v15, v10, v14
	s_branch .LBB12_17
.LBB12_22:                              ;   in Loop: Header=BB12_9 Depth=1
	s_or_b32 exec_lo, exec_lo, s6
	s_delay_alu instid0(SALU_CYCLE_1)
	s_and_not1_b32 vcc_lo, exec_lo, s37
	s_mul_i32 s7, s34, s25
	s_wait_loadcnt_dscnt 0x0
	s_cbranch_vccnz .LBB12_45
; %bb.23:                               ;   in Loop: Header=BB12_9 Depth=1
	v_dual_mov_b32 v25, v23 :: v_dual_mov_b32 v26, v7
	s_mov_b32 s42, 0
	s_branch .LBB12_25
.LBB12_24:                              ;   in Loop: Header=BB12_25 Depth=2
	s_or_b32 exec_lo, exec_lo, s43
	v_add_nc_u32_e32 v26, 1, v26
	v_add_nc_u32_e32 v25, 0x210, v25
	s_add_co_i32 s42, s42, 1
	s_delay_alu instid0(SALU_CYCLE_1)
	s_cmp_eq_u32 s42, s25
	s_cbranch_scc1 .LBB12_45
.LBB12_25:                              ;   Parent Loop BB12_9 Depth=1
                                        ; =>  This Loop Header: Depth=2
                                        ;       Child Loop BB12_28 Depth 3
                                        ;         Child Loop BB12_39 Depth 4
	s_and_saveexec_b32 s43, s0
	s_cbranch_execz .LBB12_24
; %bb.26:                               ;   in Loop: Header=BB12_25 Depth=2
	s_mul_i32 s6, s42, 0x208
	s_lshl_b32 s44, s42, 3
	v_dual_mov_b32 v28, v26 :: v_dual_mov_b32 v29, v1
	s_add_co_i32 s6, s6, s44
	s_delay_alu instid0(SALU_CYCLE_1) | instskip(SKIP_3) | instid1(VALU_DEP_1)
	v_dual_mov_b32 v10, s6 :: v_dual_add_nc_u32 v27, s42, v21
	s_add_co_i32 s44, s42, s7
	s_mov_b32 s45, 0
	s_mul_i32 s44, s44, s25
	v_cmp_gt_i32_e64 s6, s25, v27
	ds_load_b64 v[10:11], v10
	s_branch .LBB12_28
.LBB12_27:                              ;   in Loop: Header=BB12_28 Depth=3
	s_or_b32 exec_lo, exec_lo, s46
	v_dual_add_nc_u32 v29, 64, v29 :: v_dual_add_nc_u32 v28, s38, v28
	s_delay_alu instid0(VALU_DEP_1) | instskip(SKIP_1) | instid1(SALU_CYCLE_1)
	v_cmp_le_i32_e32 vcc_lo, s25, v29
	s_or_b32 s45, vcc_lo, s45
	s_and_not1_b32 exec_lo, exec_lo, s45
	s_cbranch_execz .LBB12_24
.LBB12_28:                              ;   Parent Loop BB12_9 Depth=1
                                        ;     Parent Loop BB12_25 Depth=2
                                        ; =>    This Loop Header: Depth=3
                                        ;         Child Loop BB12_39 Depth 4
	s_and_b32 vcc_lo, exec_lo, s36
	s_cbranch_vccz .LBB12_43
; %bb.29:                               ;   in Loop: Header=BB12_28 Depth=3
	v_add_nc_u32_e32 v12, s44, v29
	s_cbranch_execnz .LBB12_31
.LBB12_30:                              ;   in Loop: Header=BB12_28 Depth=3
	v_add_nc_u32_e32 v12, s7, v29
	s_delay_alu instid0(VALU_DEP_1)
	v_mad_u32 v12, v12, s25, s42
.LBB12_31:                              ;   in Loop: Header=BB12_28 Depth=3
	global_load_b64 v[12:13], v12, s[12:13] scale_offset
	s_wait_loadcnt_dscnt 0x0
	v_div_scale_f64 v[14:15], null, v[10:11], v[10:11], v[12:13]
	s_delay_alu instid0(VALU_DEP_1) | instskip(SKIP_1) | instid1(TRANS32_DEP_1)
	v_rcp_f64_e32 v[16:17], v[14:15]
	v_nop
	v_fma_f64 v[30:31], -v[14:15], v[16:17], 1.0
	s_delay_alu instid0(VALU_DEP_1) | instskip(NEXT) | instid1(VALU_DEP_1)
	v_fmac_f64_e32 v[16:17], v[16:17], v[30:31]
	v_fma_f64 v[30:31], -v[14:15], v[16:17], 1.0
	s_delay_alu instid0(VALU_DEP_1) | instskip(SKIP_1) | instid1(VALU_DEP_1)
	v_fmac_f64_e32 v[16:17], v[16:17], v[30:31]
	v_div_scale_f64 v[30:31], vcc_lo, v[12:13], v[10:11], v[12:13]
	v_mul_f64_e32 v[32:33], v[30:31], v[16:17]
	s_delay_alu instid0(VALU_DEP_1) | instskip(NEXT) | instid1(VALU_DEP_1)
	v_fma_f64 v[14:15], -v[14:15], v[32:33], v[30:31]
	v_div_fmas_f64 v[14:15], v[14:15], v[16:17], v[32:33]
	s_wait_xcnt 0x0
	s_delay_alu instid0(VALU_DEP_1)
	v_div_fixup_f64 v[12:13], v[14:15], v[10:11], v[12:13]
	s_and_saveexec_b32 s46, s3
	s_cbranch_execz .LBB12_36
; %bb.32:                               ;   in Loop: Header=BB12_28 Depth=3
	s_and_b32 vcc_lo, exec_lo, s36
	s_cbranch_vccz .LBB12_44
; %bb.33:                               ;   in Loop: Header=BB12_28 Depth=3
	v_add_nc_u32_e32 v14, s44, v29
	s_cbranch_execnz .LBB12_35
.LBB12_34:                              ;   in Loop: Header=BB12_28 Depth=3
	v_add_nc_u32_e32 v14, s7, v29
	s_delay_alu instid0(VALU_DEP_1)
	v_mad_u32 v14, v14, s25, s42
.LBB12_35:                              ;   in Loop: Header=BB12_28 Depth=3
	global_store_b64 v14, v[12:13], s[12:13] scale_offset
.LBB12_36:                              ;   in Loop: Header=BB12_28 Depth=3
	s_wait_xcnt 0x0
	s_or_b32 exec_lo, exec_lo, s46
	s_and_saveexec_b32 s46, s6
	s_cbranch_execz .LBB12_27
; %bb.37:                               ;   in Loop: Header=BB12_28 Depth=3
	v_dual_mov_b32 v30, v25 :: v_dual_mov_b32 v31, v28
	v_mov_b32_e32 v32, v27
	s_mov_b32 s47, 0
	s_branch .LBB12_39
.LBB12_38:                              ;   in Loop: Header=BB12_39 Depth=4
	s_wait_loadcnt_dscnt 0x0
	v_dual_fma_f64 v[14:15], -v[12:13], v[14:15], v[16:17] :: v_dual_add_nc_u32 v32, 1, v32
	v_add_nc_u32_e32 v31, 1, v31
	v_add_nc_u32_e32 v30, 0x208, v30
	s_delay_alu instid0(VALU_DEP_3)
	v_cmp_le_i32_e32 vcc_lo, s25, v32
	s_or_b32 s47, vcc_lo, s47
	global_store_b64 v34, v[14:15], s[12:13] scale_offset
	s_wait_xcnt 0x0
	s_and_not1_b32 exec_lo, exec_lo, s47
	s_cbranch_execz .LBB12_27
.LBB12_39:                              ;   Parent Loop BB12_9 Depth=1
                                        ;     Parent Loop BB12_25 Depth=2
                                        ;       Parent Loop BB12_28 Depth=3
                                        ; =>      This Inner Loop Header: Depth=4
	ds_load_b64 v[14:15], v30
	v_dual_mov_b32 v17, v31 :: v_dual_add_nc_u32 v16, s7, v32
	s_and_not1_b32 vcc_lo, exec_lo, s36
	s_delay_alu instid0(VALU_DEP_1)
	v_mad_u32 v33, v16, s25, v29
	s_cbranch_vccnz .LBB12_41
; %bb.40:                               ;   in Loop: Header=BB12_39 Depth=4
	v_mad_u32 v17, v16, s25, v29
.LBB12_41:                              ;   in Loop: Header=BB12_39 Depth=4
	global_load_b64 v[16:17], v17, s[12:13] scale_offset
	v_mov_b32_e32 v34, v31
	s_and_not1_b32 vcc_lo, exec_lo, s36
	s_cbranch_vccnz .LBB12_38
; %bb.42:                               ;   in Loop: Header=BB12_39 Depth=4
	v_mov_b32_e32 v34, v33
	s_branch .LBB12_38
.LBB12_43:                              ;   in Loop: Header=BB12_28 Depth=3
                                        ; implicit-def: $vgpr12
	s_branch .LBB12_30
.LBB12_44:                              ;   in Loop: Header=BB12_28 Depth=3
                                        ; implicit-def: $vgpr14
	s_branch .LBB12_34
.LBB12_45:                              ;   in Loop: Header=BB12_9 Depth=1
	s_sub_co_i32 s6, s41, s24
	s_add_co_i32 s40, s40, 1
	s_wait_storecnt 0x0
	s_cmp_ge_i32 s40, s6
	s_cbranch_scc1 .LBB12_86
; %bb.46:                               ;   in Loop: Header=BB12_9 Depth=1
	v_mad_u32 v10, s25, s40, v1
	s_delay_alu instid0(VALU_DEP_1)
	v_mul_lo_u32 v12, s25, v10
	s_branch .LBB12_50
.LBB12_47:                              ;   in Loop: Header=BB12_50 Depth=2
	s_or_b32 exec_lo, exec_lo, s42
.LBB12_48:                              ;   in Loop: Header=BB12_50 Depth=2
	s_delay_alu instid0(SALU_CYCLE_1)
	s_or_b32 exec_lo, exec_lo, s41
.LBB12_49:                              ;   in Loop: Header=BB12_50 Depth=2
	v_add_nc_u32_e32 v12, s39, v12
	s_add_co_i32 s40, s40, 1
	s_delay_alu instid0(SALU_CYCLE_1)
	s_cmp_lt_i32 s40, s6
	s_cbranch_scc0 .LBB12_86
.LBB12_50:                              ;   Parent Loop BB12_9 Depth=1
                                        ; =>  This Loop Header: Depth=2
                                        ;       Child Loop BB12_55 Depth 3
                                        ;       Child Loop BB12_64 Depth 3
                                        ;         Child Loop BB12_67 Depth 4
                                        ;       Child Loop BB12_73 Depth 3
                                        ;         Child Loop BB12_76 Depth 4
                                        ;           Child Loop BB12_78 Depth 5
	s_wait_dscnt 0x0
	v_dual_mov_b32 v10, s40 :: v_dual_mov_b32 v11, s29
	global_load_b32 v10, v10, s[10:11] scale_offset
	s_wait_xcnt 0x0
	s_and_saveexec_b32 s41, s4
	s_cbranch_execz .LBB12_52
; %bb.51:                               ;   in Loop: Header=BB12_50 Depth=2
	global_load_b32 v11, v[8:9], off
	s_wait_loadcnt 0x0
	v_subrev_nc_u32_e32 v11, s24, v11
.LBB12_52:                              ;   in Loop: Header=BB12_50 Depth=2
	s_wait_xcnt 0x0
	s_or_b32 exec_lo, exec_lo, s41
	s_wait_loadcnt 0x0
	v_subrev_nc_u32_e32 v10, s24, v10
	v_mov_b32_e32 v13, v6
	s_mov_b32 s41, exec_lo
	s_delay_alu instid0(VALU_DEP_2)
	v_cmpx_lt_i32_e64 v11, v10
	s_cbranch_execz .LBB12_58
; %bb.53:                               ;   in Loop: Header=BB12_50 Depth=2
	v_mov_b32_e32 v14, v6
	s_mov_b32 s42, 0
	s_branch .LBB12_55
.LBB12_54:                              ;   in Loop: Header=BB12_55 Depth=3
	s_wait_xcnt 0x0
	s_or_b32 exec_lo, exec_lo, s43
	s_delay_alu instid0(VALU_DEP_1) | instskip(SKIP_2) | instid1(SALU_CYCLE_1)
	v_cmp_ge_i32_e32 vcc_lo, v11, v10
	v_mov_b32_e32 v14, v13
	s_or_b32 s42, vcc_lo, s42
	s_and_not1_b32 exec_lo, exec_lo, s42
	s_cbranch_execz .LBB12_57
.LBB12_55:                              ;   Parent Loop BB12_9 Depth=1
                                        ;     Parent Loop BB12_50 Depth=2
                                        ; =>    This Inner Loop Header: Depth=3
	s_delay_alu instid0(VALU_DEP_1) | instskip(SKIP_1) | instid1(VALU_DEP_1)
	v_dual_add_nc_u32 v13, 64, v14 :: v_dual_mov_b32 v11, s29
	s_mov_b32 s43, exec_lo
	v_cmpx_gt_i32_e64 s27, v13
	s_cbranch_execz .LBB12_54
; %bb.56:                               ;   in Loop: Header=BB12_55 Depth=3
	global_load_b32 v11, v14, s[10:11] offset:256 scale_offset
	s_wait_loadcnt 0x0
	v_subrev_nc_u32_e32 v11, s24, v11
	s_branch .LBB12_54
.LBB12_57:                              ;   in Loop: Header=BB12_50 Depth=2
	s_or_b32 exec_lo, exec_lo, s42
.LBB12_58:                              ;   in Loop: Header=BB12_50 Depth=2
	s_delay_alu instid0(SALU_CYCLE_1)
	s_or_b32 exec_lo, exec_lo, s41
	v_cmp_eq_u32_e32 vcc_lo, v11, v10
	s_cbranch_vccz .LBB12_49
; %bb.59:                               ;   in Loop: Header=BB12_50 Depth=2
	s_ctz_i32_b32 s41, vcc_lo
	s_delay_alu instid0(SALU_CYCLE_1) | instskip(NEXT) | instid1(SALU_CYCLE_1)
	s_lshl_b32 s41, s41, 2
	v_mov_b32_e32 v10, s41
	ds_bpermute_b32 v10, v10, v13
	s_and_saveexec_b32 s41, s1
	s_delay_alu instid0(SALU_CYCLE_1)
	s_xor_b32 s41, exec_lo, s41
	s_cbranch_execz .LBB12_61
; %bb.60:                               ;   in Loop: Header=BB12_50 Depth=2
	s_wait_dscnt 0x0
                                        ; implicit-def: $vgpr10
.LBB12_61:                              ;   in Loop: Header=BB12_50 Depth=2
	s_and_not1_saveexec_b32 s41, s41
	s_cbranch_execz .LBB12_48
; %bb.62:                               ;   in Loop: Header=BB12_50 Depth=2
	v_dual_mov_b32 v11, v24 :: v_dual_mov_b32 v13, v12
	v_mov_b32_e32 v14, v1
	s_mul_i32 s43, s40, s25
	s_mov_b32 s42, 0
	s_branch .LBB12_64
.LBB12_63:                              ;   in Loop: Header=BB12_64 Depth=3
	s_or_b32 exec_lo, exec_lo, s44
	v_dual_add_nc_u32 v14, 64, v14 :: v_dual_add_nc_u32 v13, s38, v13
	v_add_nc_u32_e32 v11, 0x200, v11
	s_delay_alu instid0(VALU_DEP_2) | instskip(SKIP_1) | instid1(SALU_CYCLE_1)
	v_cmp_le_i32_e32 vcc_lo, s25, v14
	s_or_b32 s42, vcc_lo, s42
	s_and_not1_b32 exec_lo, exec_lo, s42
	s_cbranch_execz .LBB12_71
.LBB12_64:                              ;   Parent Loop BB12_9 Depth=1
                                        ;     Parent Loop BB12_50 Depth=2
                                        ; =>    This Loop Header: Depth=3
                                        ;         Child Loop BB12_67 Depth 4
	s_and_saveexec_b32 s44, s2
	s_cbranch_execz .LBB12_63
; %bb.65:                               ;   in Loop: Header=BB12_64 Depth=3
	v_dual_mov_b32 v15, v11 :: v_dual_mov_b32 v16, v18
	s_mov_b32 s45, 0
	s_branch .LBB12_67
.LBB12_66:                              ;   in Loop: Header=BB12_67 Depth=4
	global_load_b64 v[26:27], v17, s[12:13] scale_offset
	v_add_nc_u32_e32 v16, 1, v16
	s_delay_alu instid0(VALU_DEP_1)
	v_cmp_le_i32_e32 vcc_lo, s25, v16
	s_or_b32 s45, vcc_lo, s45
	s_wait_loadcnt 0x0
	ds_store_b64 v15, v[26:27]
	v_add_nc_u32_e32 v15, 0x208, v15
	s_wait_xcnt 0x0
	s_and_not1_b32 exec_lo, exec_lo, s45
	s_cbranch_execz .LBB12_63
.LBB12_67:                              ;   Parent Loop BB12_9 Depth=1
                                        ;     Parent Loop BB12_50 Depth=2
                                        ;       Parent Loop BB12_64 Depth=3
                                        ; =>      This Inner Loop Header: Depth=4
	s_and_b32 vcc_lo, exec_lo, s36
	s_cbranch_vccz .LBB12_69
; %bb.68:                               ;   in Loop: Header=BB12_67 Depth=4
	v_add_nc_u32_e32 v17, s43, v16
	s_delay_alu instid0(VALU_DEP_1)
	v_mad_u32 v17, v17, s25, v14
	s_cbranch_execnz .LBB12_66
	s_branch .LBB12_70
.LBB12_69:                              ;   in Loop: Header=BB12_67 Depth=4
                                        ; implicit-def: $vgpr17
.LBB12_70:                              ;   in Loop: Header=BB12_67 Depth=4
	v_add_nc_u32_e32 v17, v13, v16
	s_branch .LBB12_66
.LBB12_71:                              ;   in Loop: Header=BB12_50 Depth=2
	s_or_b32 exec_lo, exec_lo, s42
	s_wait_dscnt 0x0
	v_mul_lo_u32 v13, v10, s25
	v_dual_mov_b32 v14, v20 :: v_dual_mov_b32 v15, v1
	s_mov_b32 s42, 0
	s_branch .LBB12_73
.LBB12_72:                              ;   in Loop: Header=BB12_73 Depth=3
	s_or_b32 exec_lo, exec_lo, s43
	v_dual_add_nc_u32 v15, 64, v15 :: v_dual_add_nc_u32 v14, s38, v14
	s_delay_alu instid0(VALU_DEP_1) | instskip(SKIP_1) | instid1(SALU_CYCLE_1)
	v_cmp_le_i32_e32 vcc_lo, s25, v15
	s_or_b32 s42, vcc_lo, s42
	s_and_not1_b32 exec_lo, exec_lo, s42
	s_cbranch_execz .LBB12_47
.LBB12_73:                              ;   Parent Loop BB12_9 Depth=1
                                        ;     Parent Loop BB12_50 Depth=2
                                        ; =>    This Loop Header: Depth=3
                                        ;         Child Loop BB12_76 Depth 4
                                        ;           Child Loop BB12_78 Depth 5
	s_and_saveexec_b32 s43, s2
	s_cbranch_execz .LBB12_72
; %bb.74:                               ;   in Loop: Header=BB12_73 Depth=3
	s_delay_alu instid0(VALU_DEP_2) | instskip(SKIP_2) | instid1(VALU_DEP_2)
	v_dual_mov_b32 v17, v22 :: v_dual_add_nc_u32 v10, v15, v13
	v_mov_b32_e32 v25, v18
	s_mov_b32 s44, 0
	v_mul_lo_u32 v16, v10, s25
	s_branch .LBB12_76
.LBB12_75:                              ;   in Loop: Header=BB12_76 Depth=4
	global_load_b64 v[28:29], v26, s[12:13] scale_offset
	v_add_nc_u32_e32 v17, 0x208, v17
	v_add_nc_u32_e32 v25, 1, v25
	s_delay_alu instid0(VALU_DEP_1)
	v_cmp_le_i32_e32 vcc_lo, s25, v25
	s_or_b32 s44, vcc_lo, s44
	s_wait_loadcnt 0x0
	v_add_f64_e64 v[10:11], v[28:29], -v[10:11]
	global_store_b64 v26, v[10:11], s[12:13] scale_offset
	s_wait_xcnt 0x0
	s_and_not1_b32 exec_lo, exec_lo, s44
	s_cbranch_execz .LBB12_72
.LBB12_76:                              ;   Parent Loop BB12_9 Depth=1
                                        ;     Parent Loop BB12_50 Depth=2
                                        ;       Parent Loop BB12_73 Depth=3
                                        ; =>      This Loop Header: Depth=4
                                        ;           Child Loop BB12_78 Depth 5
	v_mov_b64_e32 v[10:11], 0
	v_mov_b32_e32 v26, v17
	s_mov_b32 s45, 0
	s_branch .LBB12_78
.LBB12_77:                              ;   in Loop: Header=BB12_78 Depth=5
	global_load_b64 v[28:29], v27, s[12:13] scale_offset
	ds_load_b64 v[30:31], v26
	v_add_nc_u32_e32 v26, 8, v26
	s_add_co_i32 s45, s45, 1
	s_delay_alu instid0(SALU_CYCLE_1)
	s_cmp_eq_u32 s25, s45
	s_wait_loadcnt_dscnt 0x0
	v_fmac_f64_e32 v[10:11], v[28:29], v[30:31]
	s_cbranch_scc1 .LBB12_82
.LBB12_78:                              ;   Parent Loop BB12_9 Depth=1
                                        ;     Parent Loop BB12_50 Depth=2
                                        ;       Parent Loop BB12_73 Depth=3
                                        ;         Parent Loop BB12_76 Depth=4
                                        ; =>        This Inner Loop Header: Depth=5
	s_and_b32 vcc_lo, exec_lo, s36
	s_cbranch_vccz .LBB12_80
; %bb.79:                               ;   in Loop: Header=BB12_78 Depth=5
	s_add_co_i32 s46, s45, s7
	s_wait_xcnt 0x0
	v_mad_u32 v27, s46, s25, v15
	s_cbranch_execnz .LBB12_77
	s_branch .LBB12_81
.LBB12_80:                              ;   in Loop: Header=BB12_78 Depth=5
                                        ; implicit-def: $vgpr27
.LBB12_81:                              ;   in Loop: Header=BB12_78 Depth=5
	s_wait_xcnt 0x0
	v_add_nc_u32_e32 v27, s45, v14
	s_branch .LBB12_77
.LBB12_82:                              ;   in Loop: Header=BB12_76 Depth=4
	s_and_b32 vcc_lo, exec_lo, s36
	s_cbranch_vccz .LBB12_84
; %bb.83:                               ;   in Loop: Header=BB12_76 Depth=4
	v_add_nc_u32_e32 v26, v25, v13
	s_delay_alu instid0(VALU_DEP_1)
	v_mad_u32 v26, v26, s25, v15
	s_cbranch_execnz .LBB12_75
	s_branch .LBB12_85
.LBB12_84:                              ;   in Loop: Header=BB12_76 Depth=4
                                        ; implicit-def: $vgpr26
.LBB12_85:                              ;   in Loop: Header=BB12_76 Depth=4
	v_add_nc_u32_e32 v26, v25, v16
	s_branch .LBB12_75
.LBB12_86:                              ;   in Loop: Header=BB12_9 Depth=1
	s_mov_b32 s7, s35
.LBB12_87:                              ;   in Loop: Header=BB12_9 Depth=1
	s_add_co_i32 s34, s34, 1
	v_dual_add_nc_u32 v7, s39, v7 :: v_dual_add_nc_u32 v20, s39, v20
	s_cmp_lt_i32 s34, s30
	s_cselect_b32 s6, -1, 0
	s_delay_alu instid0(SALU_CYCLE_1) | instskip(NEXT) | instid1(SALU_CYCLE_1)
	s_and_b32 s5, s5, s6
	s_and_b32 vcc_lo, exec_lo, s5
	s_cbranch_vccz .LBB12_89
; %bb.88:                               ;   in Loop: Header=BB12_9 Depth=1
	s_mov_b32 s35, s7
	s_branch .LBB12_9
.LBB12_89:
	v_mov_b32_e32 v1, s30
	s_wait_storecnt 0x0
	s_wait_loadcnt_dscnt 0x0
	global_load_b32 v1, v1, s[10:11] scale_offset
	s_wait_loadcnt 0x0
	s_wait_xcnt 0x0
	v_subrev_nc_u32_e32 v1, s24, v1
	s_delay_alu instid0(VALU_DEP_1)
	v_cmp_ne_u32_e32 vcc_lo, s26, v1
	s_cbranch_vccnz .LBB12_134
; %bb.90:
	v_and_b32_e32 v1, 0x3ff, v0
	s_delay_alu instid0(VALU_DEP_1)
	v_cmp_gt_i32_e64 s0, s25, v1
	v_lshlrev_b32_e32 v10, 3, v1
	s_and_saveexec_b32 s2, s0
	s_cbranch_execz .LBB12_101
; %bb.91:
	s_mul_i32 s3, s30, s25
	v_bfe_u32 v6, v0, 10, 10
	v_dual_add_nc_u32 v7, s3, v1 :: v_dual_mov_b32 v9, v1
	s_cmp_lg_u32 s28, 0
	s_mov_b32 s4, 0
	s_delay_alu instid0(VALU_DEP_2) | instskip(NEXT) | instid1(VALU_DEP_2)
	v_cmp_gt_u32_e64 s1, s25, v6
	v_mul_lo_u32 v7, s25, v7
	v_mad_u32_u24 v8, 0x208, v6, v10
	s_cselect_b32 s5, -1, 0
	s_lshl_b32 s6, s25, 6
	s_branch .LBB12_93
.LBB12_92:                              ;   in Loop: Header=BB12_93 Depth=1
	s_or_b32 exec_lo, exec_lo, s8
	s_delay_alu instid0(VALU_DEP_2) | instskip(SKIP_1) | instid1(VALU_DEP_2)
	v_dual_add_nc_u32 v9, 64, v9 :: v_dual_add_nc_u32 v7, s6, v7
	v_add_nc_u32_e32 v8, 0x200, v8
	v_cmp_le_i32_e32 vcc_lo, s25, v9
	s_or_b32 s4, vcc_lo, s4
	s_delay_alu instid0(SALU_CYCLE_1)
	s_and_not1_b32 exec_lo, exec_lo, s4
	s_cbranch_execz .LBB12_101
.LBB12_93:                              ; =>This Loop Header: Depth=1
                                        ;     Child Loop BB12_96 Depth 2
	s_and_saveexec_b32 s8, s1
	s_cbranch_execz .LBB12_92
; %bb.94:                               ;   in Loop: Header=BB12_93 Depth=1
	v_dual_mov_b32 v11, v8 :: v_dual_mov_b32 v12, v6
	s_mov_b32 s9, 0
	s_branch .LBB12_96
.LBB12_95:                              ;   in Loop: Header=BB12_96 Depth=2
	global_load_b64 v[14:15], v13, s[12:13] scale_offset
	v_add_nc_u32_e32 v12, 1, v12
	s_delay_alu instid0(VALU_DEP_1)
	v_cmp_le_i32_e32 vcc_lo, s25, v12
	s_or_b32 s9, vcc_lo, s9
	s_wait_loadcnt 0x0
	ds_store_b64 v11, v[14:15]
	v_add_nc_u32_e32 v11, 0x208, v11
	s_wait_xcnt 0x0
	s_and_not1_b32 exec_lo, exec_lo, s9
	s_cbranch_execz .LBB12_92
.LBB12_96:                              ;   Parent Loop BB12_93 Depth=1
                                        ; =>  This Inner Loop Header: Depth=2
	s_and_b32 vcc_lo, exec_lo, s5
	s_cbranch_vccz .LBB12_98
; %bb.97:                               ;   in Loop: Header=BB12_96 Depth=2
	v_add_nc_u32_e32 v13, s3, v12
	s_delay_alu instid0(VALU_DEP_1)
	v_mad_u32 v13, v13, s25, v9
	s_cbranch_execnz .LBB12_95
	s_branch .LBB12_99
.LBB12_98:                              ;   in Loop: Header=BB12_96 Depth=2
                                        ; implicit-def: $vgpr13
.LBB12_99:                              ;   in Loop: Header=BB12_96 Depth=2
	v_add_nc_u32_e32 v13, v7, v12
	s_branch .LBB12_95
.LBB12_100:
	s_mov_b32 s7, -1
	s_branch .LBB12_169
.LBB12_101:
	s_or_b32 exec_lo, exec_lo, s2
	s_cmp_lt_i32 s25, 1
	s_wait_dscnt 0x0
	s_cbranch_scc1 .LBB12_123
; %bb.102:
	v_cvt_f64_f32_e32 v[6:7], s33
	v_bfe_u32 v11, v0, 10, 10
	s_cmp_eq_u64 s[16:17], 8
	s_mov_b32 s4, 0
	s_cselect_b32 vcc_lo, -1, 0
	s_delay_alu instid0(VALU_DEP_1) | instskip(SKIP_3) | instid1(VALU_DEP_3)
	v_or_b32_e32 v8, v1, v11
	v_mul_u32_u24_e32 v9, 0x208, v11
	v_cmp_eq_u32_e64 s1, 0, v11
	v_mad_u32_u24 v12, 0x208, v11, 0x208
	v_add3_u32 v13, v9, v10, 0x210
	v_cndmask_b32_e32 v5, v7, v5, vcc_lo
	v_cmp_eq_u32_e64 s2, 0, v8
	v_cndmask_b32_e32 v4, v6, v4, vcc_lo
.LBB12_103:                             ; =>This Loop Header: Depth=1
                                        ;     Child Loop BB12_115 Depth 2
                                        ;       Child Loop BB12_119 Depth 3
	s_mul_i32 s5, s4, 0x208
	s_lshl_b32 s3, s4, 3
	s_mov_b32 s8, -1
	s_add_co_i32 s6, s5, s3
	s_and_not1_b32 vcc_lo, exec_lo, s31
	v_mov_b32_e32 v6, s6
	s_mov_b32 s3, 0
	s_wait_dscnt 0x0
	ds_load_b64 v[8:9], v6
                                        ; implicit-def: $vgpr6_vgpr7
	s_cbranch_vccz .LBB12_108
; %bb.104:                              ;   in Loop: Header=BB12_103 Depth=1
	s_and_not1_b32 vcc_lo, exec_lo, s8
	s_mov_b32 s8, 0
	s_cbranch_vccz .LBB12_111
.LBB12_105:                             ;   in Loop: Header=BB12_103 Depth=1
	s_and_not1_b32 vcc_lo, exec_lo, s3
                                        ; implicit-def: $sgpr6
	s_cbranch_vccz .LBB12_112
.LBB12_106:                             ;   in Loop: Header=BB12_103 Depth=1
	s_and_not1_b32 vcc_lo, exec_lo, s8
	s_cbranch_vccz .LBB12_121
.LBB12_107:                             ;   in Loop: Header=BB12_103 Depth=1
	v_add_nc_u32_e32 v13, 0x210, v13
	v_add_nc_u32_e32 v12, 0x210, v12
	s_cmp_eq_u32 s6, s25
	s_cbranch_scc0 .LBB12_122
	s_branch .LBB12_123
.LBB12_108:                             ;   in Loop: Header=BB12_103 Depth=1
	s_wait_dscnt 0x0
	v_cmp_ge_f64_e64 vcc_lo, v[4:5], |v[8:9]|
	v_dual_cndmask_b32 v7, v9, v3 :: v_dual_cndmask_b32 v6, v8, v2
	s_and_saveexec_b32 s3, s2
; %bb.109:                              ;   in Loop: Header=BB12_103 Depth=1
	v_mov_b32_e32 v14, s6
	ds_store_b64 v14, v[6:7]
; %bb.110:                              ;   in Loop: Header=BB12_103 Depth=1
	s_or_b32 exec_lo, exec_lo, s3
	s_mov_b32 s3, -1
	s_mov_b32 s8, 0
	s_cbranch_execnz .LBB12_105
.LBB12_111:                             ;   in Loop: Header=BB12_103 Depth=1
	s_wait_dscnt 0x0
	v_cmp_neq_f64_e64 s3, 0, v[8:9]
	v_mov_b64_e32 v[6:7], v[8:9]
	s_mov_b32 s8, -1
	s_and_not1_b32 vcc_lo, exec_lo, s3
                                        ; implicit-def: $sgpr6
	s_cbranch_vccnz .LBB12_106
.LBB12_112:                             ;   in Loop: Header=BB12_103 Depth=1
	s_add_co_i32 s6, s4, 1
	s_mov_b32 s8, exec_lo
	v_add_nc_u32_e32 v14, s6, v1
	s_delay_alu instid0(VALU_DEP_1)
	v_cmpx_gt_i32_e64 s25, v14
	s_cbranch_execz .LBB12_120
; %bb.113:                              ;   in Loop: Header=BB12_103 Depth=1
	v_dual_mov_b32 v16, v13 :: v_dual_add_nc_u32 v15, s6, v11
	s_mov_b32 s9, 0
	s_delay_alu instid0(VALU_DEP_1)
	v_cmp_gt_i32_e64 s3, s25, v15
	s_branch .LBB12_115
.LBB12_114:                             ;   in Loop: Header=BB12_115 Depth=2
	s_or_b32 exec_lo, exec_lo, s10
	v_add_nc_u32_e32 v14, 64, v14
	v_add_nc_u32_e32 v16, 0x200, v16
	s_delay_alu instid0(VALU_DEP_2) | instskip(SKIP_1) | instid1(SALU_CYCLE_1)
	v_cmp_le_i32_e32 vcc_lo, s25, v14
	s_or_b32 s9, vcc_lo, s9
	s_and_not1_b32 exec_lo, exec_lo, s9
	s_cbranch_execz .LBB12_120
.LBB12_115:                             ;   Parent Loop BB12_103 Depth=1
                                        ; =>  This Loop Header: Depth=2
                                        ;       Child Loop BB12_119 Depth 3
	v_lshl_add_u32 v17, v14, 3, s5
	s_wait_dscnt 0x0
	ds_load_b64 v[8:9], v17
	s_wait_dscnt 0x0
	v_div_scale_f64 v[18:19], null, v[6:7], v[6:7], v[8:9]
	s_delay_alu instid0(VALU_DEP_1) | instskip(SKIP_1) | instid1(TRANS32_DEP_1)
	v_rcp_f64_e32 v[20:21], v[18:19]
	v_nop
	v_fma_f64 v[22:23], -v[18:19], v[20:21], 1.0
	s_delay_alu instid0(VALU_DEP_1) | instskip(NEXT) | instid1(VALU_DEP_1)
	v_fmac_f64_e32 v[20:21], v[20:21], v[22:23]
	v_fma_f64 v[22:23], -v[18:19], v[20:21], 1.0
	s_delay_alu instid0(VALU_DEP_1) | instskip(SKIP_1) | instid1(VALU_DEP_1)
	v_fmac_f64_e32 v[20:21], v[20:21], v[22:23]
	v_div_scale_f64 v[22:23], vcc_lo, v[8:9], v[6:7], v[8:9]
	v_mul_f64_e32 v[24:25], v[22:23], v[20:21]
	s_delay_alu instid0(VALU_DEP_1) | instskip(NEXT) | instid1(VALU_DEP_1)
	v_fma_f64 v[18:19], -v[18:19], v[24:25], v[22:23]
	v_div_fmas_f64 v[18:19], v[18:19], v[20:21], v[24:25]
	s_delay_alu instid0(VALU_DEP_1)
	v_div_fixup_f64 v[8:9], v[18:19], v[6:7], v[8:9]
	s_and_saveexec_b32 s10, s1
; %bb.116:                              ;   in Loop: Header=BB12_115 Depth=2
	ds_store_b64 v17, v[8:9]
; %bb.117:                              ;   in Loop: Header=BB12_115 Depth=2
	s_or_b32 exec_lo, exec_lo, s10
	s_and_saveexec_b32 s10, s3
	s_cbranch_execz .LBB12_114
; %bb.118:                              ;   in Loop: Header=BB12_115 Depth=2
	v_dual_mov_b32 v17, v12 :: v_dual_mov_b32 v18, v16
	v_mov_b32_e32 v19, v15
	s_mov_b32 s11, 0
.LBB12_119:                             ;   Parent Loop BB12_103 Depth=1
                                        ;     Parent Loop BB12_115 Depth=2
                                        ; =>    This Inner Loop Header: Depth=3
	ds_load_b64 v[20:21], v17
	ds_load_b64 v[22:23], v18
	v_add_nc_u32_e32 v17, 0x208, v17
	v_add_nc_u32_e32 v19, 1, v19
	s_delay_alu instid0(VALU_DEP_1)
	v_cmp_le_i32_e32 vcc_lo, s25, v19
	s_or_b32 s11, vcc_lo, s11
	s_wait_dscnt 0x0
	v_fma_f64 v[20:21], -v[8:9], v[20:21], v[22:23]
	ds_store_b64 v18, v[20:21]
	v_add_nc_u32_e32 v18, 0x208, v18
	s_and_not1_b32 exec_lo, exec_lo, s11
	s_cbranch_execnz .LBB12_119
	s_branch .LBB12_114
.LBB12_120:                             ;   in Loop: Header=BB12_103 Depth=1
	s_or_b32 exec_lo, exec_lo, s8
	s_cbranch_execnz .LBB12_107
.LBB12_121:                             ;   in Loop: Header=BB12_103 Depth=1
	s_add_co_i32 s6, s4, 1
	s_mov_b32 s7, -1
	v_add_nc_u32_e32 v13, 0x210, v13
	v_add_nc_u32_e32 v12, 0x210, v12
	s_cmp_eq_u32 s6, s25
	s_cbranch_scc1 .LBB12_123
.LBB12_122:                             ;   in Loop: Header=BB12_103 Depth=1
	s_mov_b32 s4, s6
	s_branch .LBB12_103
.LBB12_123:
	s_wait_dscnt 0x0
	s_and_saveexec_b32 s1, s0
	s_cbranch_execz .LBB12_133
; %bb.124:
	s_mul_i32 s2, s30, s25
	v_bfe_u32 v4, v0, 10, 10
	v_add_nc_u32_e32 v2, s2, v1
	s_cmp_lg_u32 s28, 0
	s_mov_b32 s3, 0
	s_cselect_b32 s4, -1, 0
	v_cmp_gt_u32_e64 s0, s25, v4
	v_mul_lo_u32 v5, s25, v2
	v_mad_u32_u24 v6, 0x208, v4, v10
	s_lshl_b32 s5, s25, 6
	s_branch .LBB12_126
.LBB12_125:                             ;   in Loop: Header=BB12_126 Depth=1
	s_or_b32 exec_lo, exec_lo, s6
	v_add_nc_u32_e32 v1, 64, v1
	s_delay_alu instid0(VALU_DEP_3) | instskip(SKIP_1) | instid1(VALU_DEP_3)
	v_add_nc_u32_e32 v5, s5, v5
	v_add_nc_u32_e32 v6, 0x200, v6
	v_cmp_le_i32_e32 vcc_lo, s25, v1
	s_or_b32 s3, vcc_lo, s3
	s_delay_alu instid0(SALU_CYCLE_1)
	s_and_not1_b32 exec_lo, exec_lo, s3
	s_cbranch_execz .LBB12_133
.LBB12_126:                             ; =>This Loop Header: Depth=1
                                        ;     Child Loop BB12_129 Depth 2
	s_and_saveexec_b32 s6, s0
	s_cbranch_execz .LBB12_125
; %bb.127:                              ;   in Loop: Header=BB12_126 Depth=1
	v_dual_mov_b32 v7, v6 :: v_dual_mov_b32 v8, v4
	s_mov_b32 s8, 0
	s_branch .LBB12_129
.LBB12_128:                             ;   in Loop: Header=BB12_129 Depth=2
	v_add_nc_u32_e32 v8, 1, v8
	v_add_nc_u32_e32 v7, 0x208, v7
	s_wait_dscnt 0x0
	global_store_b64 v9, v[2:3], s[12:13] scale_offset
	v_cmp_le_i32_e32 vcc_lo, s25, v8
	s_or_b32 s8, vcc_lo, s8
	s_wait_xcnt 0x0
	s_and_not1_b32 exec_lo, exec_lo, s8
	s_cbranch_execz .LBB12_125
.LBB12_129:                             ;   Parent Loop BB12_126 Depth=1
                                        ; =>  This Inner Loop Header: Depth=2
	ds_load_b64 v[2:3], v7
	s_and_b32 vcc_lo, exec_lo, s4
	s_cbranch_vccz .LBB12_131
; %bb.130:                              ;   in Loop: Header=BB12_129 Depth=2
	v_add_nc_u32_e32 v9, s2, v8
	s_delay_alu instid0(VALU_DEP_1)
	v_mad_u32 v9, v9, s25, v1
	s_cbranch_execnz .LBB12_128
	s_branch .LBB12_132
.LBB12_131:                             ;   in Loop: Header=BB12_129 Depth=2
                                        ; implicit-def: $vgpr9
.LBB12_132:                             ;   in Loop: Header=BB12_129 Depth=2
	v_add_nc_u32_e32 v9, v5, v8
	s_branch .LBB12_128
.LBB12_133:
	s_or_b32 exec_lo, exec_lo, s1
.LBB12_134:
	s_add_co_i32 s3, s30, 1
	s_delay_alu instid0(SALU_CYCLE_1)
	s_cmp_ge_i32 s3, s27
	s_cbranch_scc1 .LBB12_169
; %bb.135:
	v_and_b32_e32 v1, 0x3ff, v0
	v_bfe_u32 v4, v0, 10, 10
	s_mul_i32 s30, s30, s25
	s_cmp_lg_u32 s28, 0
	s_mul_i32 s6, s25, s25
	v_mad_u32 v2, s25, s3, v1
	v_dual_add_nc_u32 v3, s30, v4 :: v_dual_lshlrev_b32 v8, 3, v1
	v_mul_u32_u24_e32 v9, 0x208, v1
	v_dual_lshlrev_b32 v10, 3, v4 :: v_dual_add_nc_u32 v7, 1, v4
	s_cselect_b32 s4, -1, 0
	s_cmp_gt_i32 s25, 0
	v_cmp_gt_i32_e64 s0, s25, v1
	v_cmp_gt_i32_e64 s1, s25, v4
	v_mad_u32 v6, s25, v3, s25
	v_mul_lo_u32 v5, s25, v2
	v_mad_u32_u24 v8, 0x208, v4, v8
	v_add3_u32 v9, v9, v10, 8
	s_cselect_b32 s5, -1, 0
	s_lshl_b32 s8, s25, 6
	s_add_co_i32 s9, s25, 1
.LBB12_136:                             ; =>This Loop Header: Depth=1
                                        ;     Child Loop BB12_139 Depth 2
                                        ;       Child Loop BB12_142 Depth 3
                                        ;     Child Loop BB12_149 Depth 2
                                        ;       Child Loop BB12_152 Depth 3
                                        ;         Child Loop BB12_155 Depth 4
                                        ;     Child Loop BB12_160 Depth 2
                                        ;       Child Loop BB12_163 Depth 3
	s_mul_i32 s10, s3, s25
	s_wait_storecnt 0x0
	s_and_saveexec_b32 s2, s0
	s_cbranch_execz .LBB12_146
; %bb.137:                              ;   in Loop: Header=BB12_136 Depth=1
	s_delay_alu instid0(VALU_DEP_1)
	v_dual_mov_b32 v2, v8 :: v_dual_mov_b32 v3, v5
	v_mov_b32_e32 v10, v1
	s_mov_b32 s11, 0
	s_branch .LBB12_139
.LBB12_138:                             ;   in Loop: Header=BB12_139 Depth=2
	s_or_b32 exec_lo, exec_lo, s14
	v_dual_add_nc_u32 v10, 64, v10 :: v_dual_add_nc_u32 v3, s8, v3
	v_add_nc_u32_e32 v2, 0x200, v2
	s_delay_alu instid0(VALU_DEP_2) | instskip(SKIP_1) | instid1(SALU_CYCLE_1)
	v_cmp_le_i32_e32 vcc_lo, s25, v10
	s_or_b32 s11, vcc_lo, s11
	s_and_not1_b32 exec_lo, exec_lo, s11
	s_cbranch_execz .LBB12_146
.LBB12_139:                             ;   Parent Loop BB12_136 Depth=1
                                        ; =>  This Loop Header: Depth=2
                                        ;       Child Loop BB12_142 Depth 3
	s_and_saveexec_b32 s14, s1
	s_cbranch_execz .LBB12_138
; %bb.140:                              ;   in Loop: Header=BB12_139 Depth=2
	v_dual_mov_b32 v11, v2 :: v_dual_mov_b32 v12, v4
	s_mov_b32 s15, 0
	s_branch .LBB12_142
.LBB12_141:                             ;   in Loop: Header=BB12_142 Depth=3
	global_load_b64 v[14:15], v13, s[12:13] scale_offset
	v_add_nc_u32_e32 v12, 1, v12
	s_delay_alu instid0(VALU_DEP_1)
	v_cmp_le_i32_e32 vcc_lo, s25, v12
	s_or_b32 s15, vcc_lo, s15
	s_wait_loadcnt 0x0
	ds_store_b64 v11, v[14:15]
	v_add_nc_u32_e32 v11, 0x208, v11
	s_wait_xcnt 0x0
	s_and_not1_b32 exec_lo, exec_lo, s15
	s_cbranch_execz .LBB12_138
.LBB12_142:                             ;   Parent Loop BB12_136 Depth=1
                                        ;     Parent Loop BB12_139 Depth=2
                                        ; =>    This Inner Loop Header: Depth=3
	s_and_b32 vcc_lo, exec_lo, s4
	s_cbranch_vccz .LBB12_144
; %bb.143:                              ;   in Loop: Header=BB12_142 Depth=3
	v_add_nc_u32_e32 v13, s10, v12
	s_delay_alu instid0(VALU_DEP_1)
	v_mad_u32 v13, v13, s25, v10
	s_cbranch_execnz .LBB12_141
	s_branch .LBB12_145
.LBB12_144:                             ;   in Loop: Header=BB12_142 Depth=3
                                        ; implicit-def: $vgpr13
.LBB12_145:                             ;   in Loop: Header=BB12_142 Depth=3
	v_add_nc_u32_e32 v13, v3, v12
	s_branch .LBB12_141
.LBB12_146:                             ;   in Loop: Header=BB12_136 Depth=1
	s_or_b32 exec_lo, exec_lo, s2
	s_delay_alu instid0(SALU_CYCLE_1)
	s_and_not1_b32 vcc_lo, exec_lo, s5
	s_wait_dscnt 0x0
	s_cbranch_vccnz .LBB12_157
; %bb.147:                              ;   in Loop: Header=BB12_136 Depth=1
	v_dual_mov_b32 v2, v9 :: v_dual_mov_b32 v3, v6
	s_mov_b32 s11, 0
	s_branch .LBB12_149
.LBB12_148:                             ;   in Loop: Header=BB12_149 Depth=2
	s_or_b32 exec_lo, exec_lo, s14
	v_dual_add_nc_u32 v3, s9, v3 :: v_dual_add_nc_u32 v2, 8, v2
	s_add_co_i32 s11, s11, 1
	s_delay_alu instid0(SALU_CYCLE_1)
	s_cmp_eq_u32 s11, s25
	s_cbranch_scc1 .LBB12_157
.LBB12_149:                             ;   Parent Loop BB12_136 Depth=1
                                        ; =>  This Loop Header: Depth=2
                                        ;       Child Loop BB12_152 Depth 3
                                        ;         Child Loop BB12_155 Depth 4
	s_and_saveexec_b32 s14, s0
	s_cbranch_execz .LBB12_148
; %bb.150:                              ;   in Loop: Header=BB12_149 Depth=2
	v_dual_mov_b32 v11, v2 :: v_dual_add_nc_u32 v10, s11, v7
	v_mov_b32_e32 v12, v1
	s_add_co_i32 s15, s11, s30
	s_mov_b32 s16, 0
	s_delay_alu instid0(VALU_DEP_2)
	v_cmp_gt_i32_e64 s2, s25, v10
	s_mul_i32 s15, s15, s25
	s_lshl_b32 s17, s11, 3
	s_branch .LBB12_152
.LBB12_151:                             ;   in Loop: Header=BB12_152 Depth=3
	s_or_b32 exec_lo, exec_lo, s28
	v_add_nc_u32_e32 v12, 64, v12
	v_add_nc_u32_e32 v11, 0x8200, v11
	s_delay_alu instid0(VALU_DEP_2) | instskip(SKIP_1) | instid1(SALU_CYCLE_1)
	v_cmp_le_i32_e32 vcc_lo, s25, v12
	s_or_b32 s16, vcc_lo, s16
	s_and_not1_b32 exec_lo, exec_lo, s16
	s_cbranch_execz .LBB12_148
.LBB12_152:                             ;   Parent Loop BB12_136 Depth=1
                                        ;     Parent Loop BB12_149 Depth=2
                                        ; =>    This Loop Header: Depth=3
                                        ;         Child Loop BB12_155 Depth 4
	s_and_saveexec_b32 s28, s2
	s_cbranch_execz .LBB12_151
; %bb.153:                              ;   in Loop: Header=BB12_152 Depth=3
	v_mad_u32 v13, 0x208, v12, s17
	v_dual_mov_b32 v14, v11 :: v_dual_mov_b32 v15, v3
	v_mov_b32_e32 v16, v10
	s_mov_b32 s29, 0
	s_branch .LBB12_155
.LBB12_154:                             ;   in Loop: Header=BB12_155 Depth=4
	global_load_b64 v[18:19], v17, s[12:13] scale_offset
	ds_load_b64 v[20:21], v13
	ds_load_b64 v[22:23], v14
	v_dual_add_nc_u32 v16, 1, v16 :: v_dual_add_nc_u32 v15, s25, v15
	s_wait_loadcnt_dscnt 0x0
	v_fma_f64 v[18:19], -v[18:19], v[20:21], v[22:23]
	ds_store_b64 v14, v[18:19]
	v_add_nc_u32_e32 v14, 8, v14
	v_cmp_le_i32_e32 vcc_lo, s25, v16
	s_or_b32 s29, vcc_lo, s29
	s_wait_xcnt 0x0
	s_and_not1_b32 exec_lo, exec_lo, s29
	s_cbranch_execz .LBB12_151
.LBB12_155:                             ;   Parent Loop BB12_136 Depth=1
                                        ;     Parent Loop BB12_149 Depth=2
                                        ;       Parent Loop BB12_152 Depth=3
                                        ; =>      This Inner Loop Header: Depth=4
	s_delay_alu instid0(VALU_DEP_2)
	v_mov_b32_e32 v17, v15
	s_and_not1_b32 vcc_lo, exec_lo, s4
	s_cbranch_vccnz .LBB12_154
; %bb.156:                              ;   in Loop: Header=BB12_155 Depth=4
	v_add_nc_u32_e32 v17, s15, v16
	s_branch .LBB12_154
.LBB12_157:                             ;   in Loop: Header=BB12_136 Depth=1
	s_wait_dscnt 0x0
	s_and_saveexec_b32 s2, s0
	s_cbranch_execz .LBB12_167
; %bb.158:                              ;   in Loop: Header=BB12_136 Depth=1
	v_dual_mov_b32 v10, v8 :: v_dual_mov_b32 v11, v5
	v_mov_b32_e32 v12, v1
	s_mov_b32 s11, 0
	s_branch .LBB12_160
.LBB12_159:                             ;   in Loop: Header=BB12_160 Depth=2
	s_or_b32 exec_lo, exec_lo, s14
	v_dual_add_nc_u32 v12, 64, v12 :: v_dual_add_nc_u32 v11, s8, v11
	v_add_nc_u32_e32 v10, 0x200, v10
	s_delay_alu instid0(VALU_DEP_2) | instskip(SKIP_1) | instid1(SALU_CYCLE_1)
	v_cmp_le_i32_e32 vcc_lo, s25, v12
	s_or_b32 s11, vcc_lo, s11
	s_and_not1_b32 exec_lo, exec_lo, s11
	s_cbranch_execz .LBB12_167
.LBB12_160:                             ;   Parent Loop BB12_136 Depth=1
                                        ; =>  This Loop Header: Depth=2
                                        ;       Child Loop BB12_163 Depth 3
	s_and_saveexec_b32 s14, s1
	s_cbranch_execz .LBB12_159
; %bb.161:                              ;   in Loop: Header=BB12_160 Depth=2
	v_dual_mov_b32 v13, v10 :: v_dual_mov_b32 v14, v4
	s_mov_b32 s15, 0
	s_branch .LBB12_163
.LBB12_162:                             ;   in Loop: Header=BB12_163 Depth=3
	v_add_nc_u32_e32 v14, 1, v14
	v_add_nc_u32_e32 v13, 0x208, v13
	s_wait_dscnt 0x0
	global_store_b64 v15, v[2:3], s[12:13] scale_offset
	v_cmp_le_i32_e32 vcc_lo, s25, v14
	s_or_b32 s15, vcc_lo, s15
	s_wait_xcnt 0x0
	s_and_not1_b32 exec_lo, exec_lo, s15
	s_cbranch_execz .LBB12_159
.LBB12_163:                             ;   Parent Loop BB12_136 Depth=1
                                        ;     Parent Loop BB12_160 Depth=2
                                        ; =>    This Inner Loop Header: Depth=3
	ds_load_b64 v[2:3], v13
	s_and_b32 vcc_lo, exec_lo, s4
	s_cbranch_vccz .LBB12_165
; %bb.164:                              ;   in Loop: Header=BB12_163 Depth=3
	v_add_nc_u32_e32 v15, s10, v14
	s_delay_alu instid0(VALU_DEP_1)
	v_mad_u32 v15, v15, s25, v12
	s_cbranch_execnz .LBB12_162
	s_branch .LBB12_166
.LBB12_165:                             ;   in Loop: Header=BB12_163 Depth=3
                                        ; implicit-def: $vgpr15
.LBB12_166:                             ;   in Loop: Header=BB12_163 Depth=3
	v_add_nc_u32_e32 v15, v11, v14
	s_branch .LBB12_162
.LBB12_167:                             ;   in Loop: Header=BB12_136 Depth=1
	s_or_b32 exec_lo, exec_lo, s2
; %bb.168:                              ;   in Loop: Header=BB12_136 Depth=1
	v_add_nc_u32_e32 v5, s6, v5
	s_add_co_i32 s3, s3, 1
	s_delay_alu instid0(SALU_CYCLE_1)
	s_cmp_ge_i32 s3, s27
	s_cbranch_scc0 .LBB12_136
.LBB12_169:
	v_and_b32_e32 v0, 0xfffff, v0
	s_mov_b32 s0, exec_lo
	s_delay_alu instid0(VALU_DEP_1)
	v_cmpx_eq_u32_e32 0, v0
	s_cbranch_execz .LBB12_173
; %bb.170:
	v_dual_mov_b32 v0, 0 :: v_dual_mov_b32 v1, 1
	s_add_nc_u64 s[0:1], s[20:21], s[22:23]
	s_and_not1_b32 vcc_lo, exec_lo, s7
	global_wb scope:SCOPE_DEV
	s_wait_storecnt 0x0
	s_wait_loadcnt_dscnt 0x0
	global_store_b32 v0, v1, s[0:1] scope:SCOPE_DEV
	s_cbranch_vccnz .LBB12_173
; %bb.171:
	s_wait_xcnt 0x0
	v_mbcnt_lo_u32_b32 v0, exec_lo, 0
	s_delay_alu instid0(VALU_DEP_1)
	v_cmp_eq_u32_e32 vcc_lo, 0, v0
	s_and_b32 exec_lo, exec_lo, vcc_lo
	s_cbranch_execz .LBB12_173
; %bb.172:
	s_add_co_i32 s0, s26, s24
	s_delay_alu instid0(SALU_CYCLE_1)
	v_dual_mov_b32 v0, 0 :: v_dual_mov_b32 v1, s0
	global_atomic_min_i32 v0, v1, s[18:19] scope:SCOPE_DEV
.LBB12_173:
	s_endpgm
	.section	.rodata,"a",@progbits
	.p2align	6, 0x0
	.amdhsa_kernel _ZN9rocsparseL13bsrilu0_33_64ILj64ELj64ELj64EdEEv20rocsparse_direction_iPKiS3_PT2_S3_iPiS3_S6_21rocsparse_index_base_imNS_24const_host_device_scalarIfEENS8_IdEENS8_IS4_EEb
		.amdhsa_group_segment_fixed_size 33280
		.amdhsa_private_segment_fixed_size 0
		.amdhsa_kernarg_size 116
		.amdhsa_user_sgpr_count 2
		.amdhsa_user_sgpr_dispatch_ptr 0
		.amdhsa_user_sgpr_queue_ptr 0
		.amdhsa_user_sgpr_kernarg_segment_ptr 1
		.amdhsa_user_sgpr_dispatch_id 0
		.amdhsa_user_sgpr_kernarg_preload_length 0
		.amdhsa_user_sgpr_kernarg_preload_offset 0
		.amdhsa_user_sgpr_private_segment_size 0
		.amdhsa_wavefront_size32 1
		.amdhsa_uses_dynamic_stack 0
		.amdhsa_enable_private_segment 0
		.amdhsa_system_sgpr_workgroup_id_x 1
		.amdhsa_system_sgpr_workgroup_id_y 0
		.amdhsa_system_sgpr_workgroup_id_z 0
		.amdhsa_system_sgpr_workgroup_info 0
		.amdhsa_system_vgpr_workitem_id 1
		.amdhsa_next_free_vgpr 161
		.amdhsa_next_free_sgpr 48
		.amdhsa_named_barrier_count 0
		.amdhsa_reserve_vcc 1
		.amdhsa_float_round_mode_32 0
		.amdhsa_float_round_mode_16_64 0
		.amdhsa_float_denorm_mode_32 3
		.amdhsa_float_denorm_mode_16_64 3
		.amdhsa_fp16_overflow 0
		.amdhsa_memory_ordered 1
		.amdhsa_forward_progress 1
		.amdhsa_inst_pref_size 37
		.amdhsa_round_robin_scheduling 0
		.amdhsa_exception_fp_ieee_invalid_op 0
		.amdhsa_exception_fp_denorm_src 0
		.amdhsa_exception_fp_ieee_div_zero 0
		.amdhsa_exception_fp_ieee_overflow 0
		.amdhsa_exception_fp_ieee_underflow 0
		.amdhsa_exception_fp_ieee_inexact 0
		.amdhsa_exception_int_div_zero 0
	.end_amdhsa_kernel
	.section	.text._ZN9rocsparseL13bsrilu0_33_64ILj64ELj64ELj64EdEEv20rocsparse_direction_iPKiS3_PT2_S3_iPiS3_S6_21rocsparse_index_base_imNS_24const_host_device_scalarIfEENS8_IdEENS8_IS4_EEb,"axG",@progbits,_ZN9rocsparseL13bsrilu0_33_64ILj64ELj64ELj64EdEEv20rocsparse_direction_iPKiS3_PT2_S3_iPiS3_S6_21rocsparse_index_base_imNS_24const_host_device_scalarIfEENS8_IdEENS8_IS4_EEb,comdat
.Lfunc_end12:
	.size	_ZN9rocsparseL13bsrilu0_33_64ILj64ELj64ELj64EdEEv20rocsparse_direction_iPKiS3_PT2_S3_iPiS3_S6_21rocsparse_index_base_imNS_24const_host_device_scalarIfEENS8_IdEENS8_IS4_EEb, .Lfunc_end12-_ZN9rocsparseL13bsrilu0_33_64ILj64ELj64ELj64EdEEv20rocsparse_direction_iPKiS3_PT2_S3_iPiS3_S6_21rocsparse_index_base_imNS_24const_host_device_scalarIfEENS8_IdEENS8_IS4_EEb
                                        ; -- End function
	.set _ZN9rocsparseL13bsrilu0_33_64ILj64ELj64ELj64EdEEv20rocsparse_direction_iPKiS3_PT2_S3_iPiS3_S6_21rocsparse_index_base_imNS_24const_host_device_scalarIfEENS8_IdEENS8_IS4_EEb.num_vgpr, 35
	.set _ZN9rocsparseL13bsrilu0_33_64ILj64ELj64ELj64EdEEv20rocsparse_direction_iPKiS3_PT2_S3_iPiS3_S6_21rocsparse_index_base_imNS_24const_host_device_scalarIfEENS8_IdEENS8_IS4_EEb.num_agpr, 0
	.set _ZN9rocsparseL13bsrilu0_33_64ILj64ELj64ELj64EdEEv20rocsparse_direction_iPKiS3_PT2_S3_iPiS3_S6_21rocsparse_index_base_imNS_24const_host_device_scalarIfEENS8_IdEENS8_IS4_EEb.numbered_sgpr, 48
	.set _ZN9rocsparseL13bsrilu0_33_64ILj64ELj64ELj64EdEEv20rocsparse_direction_iPKiS3_PT2_S3_iPiS3_S6_21rocsparse_index_base_imNS_24const_host_device_scalarIfEENS8_IdEENS8_IS4_EEb.num_named_barrier, 0
	.set _ZN9rocsparseL13bsrilu0_33_64ILj64ELj64ELj64EdEEv20rocsparse_direction_iPKiS3_PT2_S3_iPiS3_S6_21rocsparse_index_base_imNS_24const_host_device_scalarIfEENS8_IdEENS8_IS4_EEb.private_seg_size, 0
	.set _ZN9rocsparseL13bsrilu0_33_64ILj64ELj64ELj64EdEEv20rocsparse_direction_iPKiS3_PT2_S3_iPiS3_S6_21rocsparse_index_base_imNS_24const_host_device_scalarIfEENS8_IdEENS8_IS4_EEb.uses_vcc, 1
	.set _ZN9rocsparseL13bsrilu0_33_64ILj64ELj64ELj64EdEEv20rocsparse_direction_iPKiS3_PT2_S3_iPiS3_S6_21rocsparse_index_base_imNS_24const_host_device_scalarIfEENS8_IdEENS8_IS4_EEb.uses_flat_scratch, 0
	.set _ZN9rocsparseL13bsrilu0_33_64ILj64ELj64ELj64EdEEv20rocsparse_direction_iPKiS3_PT2_S3_iPiS3_S6_21rocsparse_index_base_imNS_24const_host_device_scalarIfEENS8_IdEENS8_IS4_EEb.has_dyn_sized_stack, 0
	.set _ZN9rocsparseL13bsrilu0_33_64ILj64ELj64ELj64EdEEv20rocsparse_direction_iPKiS3_PT2_S3_iPiS3_S6_21rocsparse_index_base_imNS_24const_host_device_scalarIfEENS8_IdEENS8_IS4_EEb.has_recursion, 0
	.set _ZN9rocsparseL13bsrilu0_33_64ILj64ELj64ELj64EdEEv20rocsparse_direction_iPKiS3_PT2_S3_iPiS3_S6_21rocsparse_index_base_imNS_24const_host_device_scalarIfEENS8_IdEENS8_IS4_EEb.has_indirect_call, 0
	.section	.AMDGPU.csdata,"",@progbits
; Kernel info:
; codeLenInByte = 4696
; TotalNumSgprs: 50
; NumVgprs: 35
; ScratchSize: 0
; MemoryBound: 0
; FloatMode: 240
; IeeeMode: 1
; LDSByteSize: 33280 bytes/workgroup (compile time only)
; SGPRBlocks: 0
; VGPRBlocks: 10
; NumSGPRsForWavesPerEU: 50
; NumVGPRsForWavesPerEU: 161
; NamedBarCnt: 0
; Occupancy: 5
; WaveLimiterHint : 1
; COMPUTE_PGM_RSRC2:SCRATCH_EN: 0
; COMPUTE_PGM_RSRC2:USER_SGPR: 2
; COMPUTE_PGM_RSRC2:TRAP_HANDLER: 0
; COMPUTE_PGM_RSRC2:TGID_X_EN: 1
; COMPUTE_PGM_RSRC2:TGID_Y_EN: 0
; COMPUTE_PGM_RSRC2:TGID_Z_EN: 0
; COMPUTE_PGM_RSRC2:TIDIG_COMP_CNT: 1
	.section	.text._ZN9rocsparseL15bsrilu0_generalILj128ELj64ELb0EdEEv20rocsparse_direction_iPKiS3_PT2_S3_iPiS3_S6_21rocsparse_index_base_imNS_24const_host_device_scalarIfEENS8_IdEENS8_IS4_EEb,"axG",@progbits,_ZN9rocsparseL15bsrilu0_generalILj128ELj64ELb0EdEEv20rocsparse_direction_iPKiS3_PT2_S3_iPiS3_S6_21rocsparse_index_base_imNS_24const_host_device_scalarIfEENS8_IdEENS8_IS4_EEb,comdat
	.globl	_ZN9rocsparseL15bsrilu0_generalILj128ELj64ELb0EdEEv20rocsparse_direction_iPKiS3_PT2_S3_iPiS3_S6_21rocsparse_index_base_imNS_24const_host_device_scalarIfEENS8_IdEENS8_IS4_EEb ; -- Begin function _ZN9rocsparseL15bsrilu0_generalILj128ELj64ELb0EdEEv20rocsparse_direction_iPKiS3_PT2_S3_iPiS3_S6_21rocsparse_index_base_imNS_24const_host_device_scalarIfEENS8_IdEENS8_IS4_EEb
	.p2align	8
	.type	_ZN9rocsparseL15bsrilu0_generalILj128ELj64ELb0EdEEv20rocsparse_direction_iPKiS3_PT2_S3_iPiS3_S6_21rocsparse_index_base_imNS_24const_host_device_scalarIfEENS8_IdEENS8_IS4_EEb,@function
_ZN9rocsparseL15bsrilu0_generalILj128ELj64ELb0EdEEv20rocsparse_direction_iPKiS3_PT2_S3_iPiS3_S6_21rocsparse_index_base_imNS_24const_host_device_scalarIfEENS8_IdEENS8_IS4_EEb: ; @_ZN9rocsparseL15bsrilu0_generalILj128ELj64ELb0EdEEv20rocsparse_direction_iPKiS3_PT2_S3_iPiS3_S6_21rocsparse_index_base_imNS_24const_host_device_scalarIfEENS8_IdEENS8_IS4_EEb
; %bb.0:
	s_clause 0x2
	s_load_b32 s2, s[0:1], 0x70
	s_load_b64 s[6:7], s[0:1], 0x48
	s_load_b256 s[16:23], s[0:1], 0x50
	s_wait_kmcnt 0x0
	s_bitcmp1_b32 s2, 0
	s_cselect_b32 s2, -1, 0
	s_cmp_eq_u32 s7, 0
	s_cselect_b32 s4, -1, 0
	s_cmp_lg_u32 s7, 0
	s_cselect_b32 s26, -1, 0
	s_or_b32 s7, s4, s2
	s_delay_alu instid0(SALU_CYCLE_1)
	s_xor_b32 s5, s7, -1
	s_and_b32 s2, s4, exec_lo
	s_cselect_b32 s3, 0, s21
	s_cselect_b32 s2, 0, s20
	;; [unrolled: 1-line block ×3, first 2 shown]
	s_and_b32 vcc_lo, exec_lo, s7
	s_cbranch_vccnz .LBB13_2
; %bb.1:
	s_load_b32 s27, s[18:19], 0x0
	s_mov_b64 s[2:3], s[20:21]
.LBB13_2:
	s_delay_alu instid0(SALU_CYCLE_1)
	v_mov_b64_e32 v[6:7], s[2:3]
	v_cndmask_b32_e64 v1, 0, 1, s5
	s_and_not1_b32 vcc_lo, exec_lo, s5
	s_cbranch_vccnz .LBB13_4
; %bb.3:
	v_mov_b32_e32 v2, 0
	flat_load_b64 v[6:7], v2, s[20:21]
.LBB13_4:
	s_and_b32 s2, s4, exec_lo
	s_cselect_b32 s3, 0, s23
	s_cselect_b32 s2, 0, s22
	v_cmp_ne_u32_e32 vcc_lo, 1, v1
	v_mov_b64_e32 v[4:5], s[2:3]
	s_cbranch_vccnz .LBB13_6
; %bb.5:
	v_mov_b32_e32 v1, 0
	flat_load_b64 v[4:5], v1, s[22:23]
.LBB13_6:
	s_load_b64 s[24:25], s[0:1], 0x0
	s_bfe_u32 s2, ttmp6, 0x4000c
	s_and_b32 s3, ttmp6, 15
	s_add_co_i32 s2, s2, 1
	s_getreg_b32 s4, hwreg(HW_REG_IB_STS2, 6, 4)
	s_mul_i32 s2, ttmp9, s2
	v_lshrrev_b32_e32 v1, 6, v0
	s_add_co_i32 s3, s3, s2
	s_cmp_eq_u32 s4, 0
	s_cselect_b32 s2, ttmp9, s3
	s_delay_alu instid0(SALU_CYCLE_1) | instskip(NEXT) | instid1(SALU_CYCLE_1)
	s_lshl_b32 s2, s2, 1
	v_and_or_b32 v1, 0x3fffffe, s2, v1
	s_mov_b32 s2, exec_lo
	s_wait_kmcnt 0x0
	s_delay_alu instid0(VALU_DEP_1)
	v_cmpx_gt_i32_e64 s25, v1
	s_cbranch_execz .LBB13_139
; %bb.7:
	s_clause 0x2
	s_load_b128 s[20:23], s[0:1], 0x30
	s_load_b64 s[18:19], s[0:1], 0x40
	s_load_b256 s[8:15], s[0:1], 0x8
	s_mov_b32 s2, -1
	s_mov_b32 s5, exec_lo
	s_wait_kmcnt 0x0
	global_load_b32 v2, v1, s[22:23] scale_offset
	s_wait_loadcnt 0x0
	v_dual_ashrrev_i32 v3, 31, v2 :: v_dual_bitop2_b32 v18, 63, v0 bitop3:0x40
	global_load_b32 v20, v2, s[14:15] scale_offset
	s_wait_loadcnt 0x0
	v_cmpx_ne_u32_e32 -1, v20
	s_cbranch_execz .LBB13_133
; %bb.8:
	v_lshl_add_u64 v[0:1], v[2:3], 2, s[8:9]
	s_load_b32 s7, s[0:1], 0x28
	s_mov_b32 s2, 0
	s_mov_b32 s22, exec_lo
	global_load_b64 v[0:1], v[0:1], off
	s_wait_loadcnt 0x0
	v_subrev_nc_u32_e32 v21, s6, v0
	v_subrev_nc_u32_e32 v19, s6, v1
	s_delay_alu instid0(VALU_DEP_2)
	v_cmpx_lt_i32_e64 v21, v20
	s_cbranch_execz .LBB13_74
; %bb.9:
	s_wait_kmcnt 0x0
	v_mad_u32 v1, s7, v21, v18
	v_add_nc_u32_e32 v0, v21, v18
	s_cmp_gt_i32 s7, 0
	v_cmp_gt_i32_e64 s0, s7, v18
	v_cmp_le_i32_e64 s1, s7, v18
	s_cselect_b32 s28, -1, 0
	v_cmp_lt_i32_e64 s2, v0, v19
	s_cmp_lg_u32 s24, 0
	s_mov_b32 s34, 0
	s_mul_i32 s23, s7, s7
	s_cselect_b32 s29, -1, 0
	v_mul_lo_u32 v22, s7, v1
	v_ashrrev_i32_e32 v1, 31, v0
	s_add_co_i32 s25, s25, 1
	s_add_co_i32 s30, s7, 1
	s_lshl_b32 s31, s7, 6
	s_add_co_i32 s33, s7, -1
	v_lshl_add_u64 v[8:9], v[0:1], 2, s[10:11]
	s_mov_b32 s35, 0
                                        ; implicit-def: $sgpr36
                                        ; implicit-def: $sgpr37
	s_delay_alu instid0(VALU_DEP_3)
	v_add_nc_u32_e32 v1, 1, v22
	s_branch .LBB13_12
.LBB13_10:                              ;   in Loop: Header=BB13_12 Depth=1
	s_or_b32 exec_lo, exec_lo, s4
	s_delay_alu instid0(SALU_CYCLE_1) | instskip(SKIP_1) | instid1(SALU_CYCLE_1)
	s_and_not1_b32 s4, s37, exec_lo
	s_and_b32 s34, s34, exec_lo
	s_or_b32 s37, s4, s34
.LBB13_11:                              ;   in Loop: Header=BB13_12 Depth=1
	s_or_b32 exec_lo, exec_lo, s38
	v_dual_add_nc_u32 v21, 1, v21 :: v_dual_add_nc_u32 v22, s23, v22
	s_xor_b32 s3, s3, -1
	v_add_nc_u32_e32 v1, s23, v1
	s_mov_b32 s34, s37
	s_delay_alu instid0(VALU_DEP_2) | instskip(SKIP_1) | instid1(SALU_CYCLE_1)
	v_cmp_ge_i32_e32 vcc_lo, v21, v20
	s_or_b32 s3, s3, vcc_lo
	s_and_b32 s3, exec_lo, s3
	s_delay_alu instid0(SALU_CYCLE_1) | instskip(SKIP_2) | instid1(SALU_CYCLE_1)
	s_or_b32 s35, s3, s35
	s_and_not1_b32 s3, s36, exec_lo
	s_and_b32 s4, s37, exec_lo
	s_or_b32 s36, s3, s4
	s_and_not1_b32 exec_lo, exec_lo, s35
	s_cbranch_execz .LBB13_73
.LBB13_12:                              ; =>This Loop Header: Depth=1
                                        ;     Child Loop BB13_15 Depth 2
                                        ;     Child Loop BB13_20 Depth 2
                                        ;       Child Loop BB13_25 Depth 3
                                        ;         Child Loop BB13_34 Depth 4
                                        ;     Child Loop BB13_47 Depth 2
                                        ;       Child Loop BB13_52 Depth 3
                                        ;       Child Loop BB13_59 Depth 3
                                        ;         Child Loop BB13_61 Depth 4
                                        ;           Child Loop BB13_63 Depth 5
	s_wait_dscnt 0x0
	global_load_b32 v10, v21, s[10:11] scale_offset
	s_or_b32 s37, s37, exec_lo
	s_wait_loadcnt 0x0
	v_subrev_nc_u32_e32 v10, s6, v10
	global_load_b32 v24, v10, s[14:15] scale_offset
	s_wait_loadcnt 0x0
	v_cmp_ne_u32_e64 s3, -1, v24
	s_wait_xcnt 0x0
	s_and_saveexec_b32 s38, s3
	s_cbranch_execz .LBB13_11
; %bb.13:                               ;   in Loop: Header=BB13_12 Depth=1
	v_ashrrev_i32_e32 v11, 31, v10
	s_mov_b32 s4, exec_lo
	s_delay_alu instid0(VALU_DEP_1) | instskip(NEXT) | instid1(VALU_DEP_1)
	v_lshlrev_b64_e32 v[10:11], 2, v[10:11]
	v_add_nc_u64_e32 v[12:13], s[8:9], v[10:11]
	v_add_nc_u64_e32 v[10:11], s[20:21], v[10:11]
	global_load_b32 v25, v[12:13], off offset:4
	global_load_b32 v14, v[10:11], off scope:SCOPE_DEV
	s_wait_loadcnt 0x0
	s_wait_xcnt 0x0
	v_cmpx_eq_u32_e32 0, v14
	s_cbranch_execz .LBB13_16
; %bb.14:                               ;   in Loop: Header=BB13_12 Depth=1
	s_mov_b32 s39, 0
.LBB13_15:                              ;   Parent Loop BB13_12 Depth=1
                                        ; =>  This Inner Loop Header: Depth=2
	global_load_b32 v12, v[10:11], off scope:SCOPE_DEV
	s_wait_loadcnt 0x0
	v_cmp_ne_u32_e32 vcc_lo, 0, v12
	s_or_b32 s39, vcc_lo, s39
	s_wait_xcnt 0x0
	s_and_not1_b32 exec_lo, exec_lo, s39
	s_cbranch_execnz .LBB13_15
.LBB13_16:                              ;   in Loop: Header=BB13_12 Depth=1
	s_or_b32 exec_lo, exec_lo, s4
	v_mul_lo_u32 v23, v21, s7
	s_and_not1_b32 vcc_lo, exec_lo, s28
	s_wait_dscnt 0x0
	global_inv scope:SCOPE_DEV
	s_cbranch_vccnz .LBB13_43
; %bb.17:                               ;   in Loop: Header=BB13_12 Depth=1
	v_mul_lo_u32 v26, v24, s7
	v_mad_u32 v27, s23, v24, 1
	v_dual_mov_b32 v28, 0 :: v_dual_mov_b32 v29, v1
	s_mov_b32 s39, 0
	s_mov_b32 s40, s33
	s_branch .LBB13_20
.LBB13_18:                              ;   in Loop: Header=BB13_20 Depth=2
	s_or_b32 exec_lo, exec_lo, s42
	v_mov_b32_e32 v28, v30
.LBB13_19:                              ;   in Loop: Header=BB13_20 Depth=2
	s_or_b32 exec_lo, exec_lo, s41
	s_delay_alu instid0(VALU_DEP_1) | instskip(SKIP_3) | instid1(SALU_CYCLE_1)
	v_cmp_eq_u32_e32 vcc_lo, s7, v28
	v_dual_add_nc_u32 v27, s30, v27 :: v_dual_add_nc_u32 v29, 1, v29
	s_add_co_i32 s40, s40, -1
	s_or_b32 s39, vcc_lo, s39
	s_and_not1_b32 exec_lo, exec_lo, s39
	s_cbranch_execz .LBB13_42
.LBB13_20:                              ;   Parent Loop BB13_12 Depth=1
                                        ; =>  This Loop Header: Depth=2
                                        ;       Child Loop BB13_25 Depth 3
                                        ;         Child Loop BB13_34 Depth 4
	s_delay_alu instid0(VALU_DEP_1) | instskip(SKIP_1) | instid1(SALU_CYCLE_1)
	v_add_nc_u32_e32 v30, 1, v28
	s_and_saveexec_b32 s4, s1
	s_xor_b32 s4, exec_lo, s4
; %bb.21:                               ;   in Loop: Header=BB13_20 Depth=2
	v_add_nc_u32_e32 v28, 1, v28
                                        ; implicit-def: $vgpr30
; %bb.22:                               ;   in Loop: Header=BB13_20 Depth=2
	s_and_not1_saveexec_b32 s41, s4
	s_cbranch_execz .LBB13_19
; %bb.23:                               ;   in Loop: Header=BB13_20 Depth=2
	s_delay_alu instid0(VALU_DEP_1) | instskip(SKIP_2) | instid1(VALU_DEP_3)
	v_dual_add_nc_u32 v10, v28, v26 :: v_dual_add_nc_u32 v12, v28, v23
	v_cmp_gt_i32_e64 s4, s7, v30
	v_dual_mov_b32 v32, v29 :: v_dual_mov_b32 v33, v18
	v_mad_u32 v10, v10, s7, v28
	s_delay_alu instid0(VALU_DEP_4)
	v_mul_lo_u32 v31, v12, s7
	s_mov_b32 s42, 0
	global_load_b64 v[10:11], v10, s[12:13] scale_offset
	s_branch .LBB13_25
.LBB13_24:                              ;   in Loop: Header=BB13_25 Depth=3
	s_wait_xcnt 0x0
	s_or_b32 exec_lo, exec_lo, s43
	v_dual_add_nc_u32 v33, 64, v33 :: v_dual_add_nc_u32 v32, s31, v32
	s_delay_alu instid0(VALU_DEP_1) | instskip(SKIP_1) | instid1(SALU_CYCLE_1)
	v_cmp_le_i32_e32 vcc_lo, s7, v33
	s_or_b32 s42, vcc_lo, s42
	s_and_not1_b32 exec_lo, exec_lo, s42
	s_cbranch_execz .LBB13_18
.LBB13_25:                              ;   Parent Loop BB13_12 Depth=1
                                        ;     Parent Loop BB13_20 Depth=2
                                        ; =>    This Loop Header: Depth=3
                                        ;         Child Loop BB13_34 Depth 4
	v_add_nc_u32_e32 v14, v33, v31
	s_and_b32 vcc_lo, exec_lo, s29
	s_cbranch_vccz .LBB13_40
; %bb.26:                               ;   in Loop: Header=BB13_25 Depth=3
	v_add_nc_u32_e32 v12, v33, v31
	v_add_nc_u32_e32 v13, v33, v23
	s_delay_alu instid0(VALU_DEP_1)
	v_mad_u32 v15, v13, s7, v28
	s_cbranch_execnz .LBB13_28
.LBB13_27:                              ;   in Loop: Header=BB13_25 Depth=3
	v_mad_u32 v12, v13, s7, v28
.LBB13_28:                              ;   in Loop: Header=BB13_25 Depth=3
	global_load_b64 v[12:13], v12, s[12:13] scale_offset
	s_and_b32 vcc_lo, exec_lo, s29
	s_cbranch_vccz .LBB13_41
; %bb.29:                               ;   in Loop: Header=BB13_25 Depth=3
	s_cbranch_execnz .LBB13_31
.LBB13_30:                              ;   in Loop: Header=BB13_25 Depth=3
	v_mov_b32_e32 v14, v15
.LBB13_31:                              ;   in Loop: Header=BB13_25 Depth=3
	s_wait_loadcnt 0x0
	v_div_scale_f64 v[16:17], null, v[10:11], v[10:11], v[12:13]
	s_delay_alu instid0(VALU_DEP_1) | instskip(SKIP_1) | instid1(TRANS32_DEP_1)
	v_rcp_f64_e32 v[34:35], v[16:17]
	v_nop
	v_fma_f64 v[36:37], -v[16:17], v[34:35], 1.0
	s_delay_alu instid0(VALU_DEP_1) | instskip(NEXT) | instid1(VALU_DEP_1)
	v_fmac_f64_e32 v[34:35], v[34:35], v[36:37]
	v_fma_f64 v[36:37], -v[16:17], v[34:35], 1.0
	s_delay_alu instid0(VALU_DEP_1) | instskip(SKIP_1) | instid1(VALU_DEP_1)
	v_fmac_f64_e32 v[34:35], v[34:35], v[36:37]
	v_div_scale_f64 v[36:37], vcc_lo, v[12:13], v[10:11], v[12:13]
	v_mul_f64_e32 v[38:39], v[36:37], v[34:35]
	s_delay_alu instid0(VALU_DEP_1) | instskip(NEXT) | instid1(VALU_DEP_1)
	v_fma_f64 v[16:17], -v[16:17], v[38:39], v[36:37]
	v_div_fmas_f64 v[16:17], v[16:17], v[34:35], v[38:39]
	s_wait_xcnt 0x0
	s_delay_alu instid0(VALU_DEP_1)
	v_div_fixup_f64 v[12:13], v[16:17], v[10:11], v[12:13]
	global_store_b64 v14, v[12:13], s[12:13] scale_offset
	s_wait_xcnt 0x0
	s_and_saveexec_b32 s43, s4
	s_cbranch_execz .LBB13_24
; %bb.32:                               ;   in Loop: Header=BB13_25 Depth=3
	v_dual_mov_b32 v34, v32 :: v_dual_mov_b32 v35, v27
	v_mov_b32_e32 v36, v30
	s_mov_b32 s44, s40
	s_branch .LBB13_34
.LBB13_33:                              ;   in Loop: Header=BB13_34 Depth=4
	s_wait_loadcnt 0x0
	s_wait_xcnt 0x1
	v_dual_fma_f64 v[14:15], -v[12:13], v[14:15], v[16:17] :: v_dual_add_nc_u32 v36, 1, v36
	v_dual_add_nc_u32 v35, 1, v35 :: v_dual_add_nc_u32 v34, 1, v34
	s_add_co_i32 s44, s44, -1
	s_delay_alu instid0(SALU_CYCLE_1)
	s_cmp_eq_u32 s44, 0
	global_store_b64 v38, v[14:15], s[12:13] scale_offset
	s_cbranch_scc1 .LBB13_24
.LBB13_34:                              ;   Parent Loop BB13_12 Depth=1
                                        ;     Parent Loop BB13_20 Depth=2
                                        ;       Parent Loop BB13_25 Depth=3
                                        ; =>      This Inner Loop Header: Depth=4
	s_wait_xcnt 0x0
	v_mov_b32_e32 v14, v35
	s_and_not1_b32 vcc_lo, exec_lo, s29
	s_cbranch_vccnz .LBB13_36
; %bb.35:                               ;   in Loop: Header=BB13_34 Depth=4
	v_add_nc_u32_e32 v14, v36, v26
	s_delay_alu instid0(VALU_DEP_1)
	v_mad_u32 v14, v14, s7, v28
.LBB13_36:                              ;   in Loop: Header=BB13_34 Depth=4
	global_load_b64 v[14:15], v14, s[12:13] scale_offset
	v_dual_mov_b32 v17, v34 :: v_dual_add_nc_u32 v16, v36, v23
	s_and_not1_b32 vcc_lo, exec_lo, s29
	s_delay_alu instid0(VALU_DEP_1)
	v_mad_u32 v37, v16, s7, v33
	s_cbranch_vccnz .LBB13_38
; %bb.37:                               ;   in Loop: Header=BB13_34 Depth=4
	v_mad_u32 v17, v16, s7, v33
.LBB13_38:                              ;   in Loop: Header=BB13_34 Depth=4
	global_load_b64 v[16:17], v17, s[12:13] scale_offset
	v_mov_b32_e32 v38, v34
	s_and_not1_b32 vcc_lo, exec_lo, s29
	s_cbranch_vccnz .LBB13_33
; %bb.39:                               ;   in Loop: Header=BB13_34 Depth=4
	v_mov_b32_e32 v38, v37
	s_branch .LBB13_33
.LBB13_40:                              ;   in Loop: Header=BB13_25 Depth=3
                                        ; implicit-def: $vgpr12
	v_add_nc_u32_e32 v13, v33, v23
	s_delay_alu instid0(VALU_DEP_1)
	v_mad_u32 v15, v13, s7, v28
	s_branch .LBB13_27
.LBB13_41:                              ;   in Loop: Header=BB13_25 Depth=3
                                        ; implicit-def: $vgpr14
	s_branch .LBB13_30
.LBB13_42:                              ;   in Loop: Header=BB13_12 Depth=1
	s_or_b32 exec_lo, exec_lo, s39
.LBB13_43:                              ;   in Loop: Header=BB13_12 Depth=1
	v_subrev_nc_u32_e32 v14, s6, v25
	v_add_nc_u32_e32 v15, 1, v24
	s_mov_b32 s4, exec_lo
	s_delay_alu instid0(VALU_DEP_1)
	v_cmpx_lt_i32_e64 v15, v14
	s_cbranch_execz .LBB13_10
; %bb.44:                               ;   in Loop: Header=BB13_12 Depth=1
	v_mul_lo_u32 v16, s23, v15
	s_mov_b32 s39, 0
	s_branch .LBB13_47
.LBB13_45:                              ;   in Loop: Header=BB13_47 Depth=2
	s_or_b32 exec_lo, exec_lo, s40
.LBB13_46:                              ;   in Loop: Header=BB13_47 Depth=2
	v_dual_add_nc_u32 v15, 1, v15 :: v_dual_add_nc_u32 v16, s23, v16
	s_delay_alu instid0(VALU_DEP_1) | instskip(SKIP_1) | instid1(SALU_CYCLE_1)
	v_cmp_ge_i32_e32 vcc_lo, v15, v14
	s_or_b32 s39, vcc_lo, s39
	s_and_not1_b32 exec_lo, exec_lo, s39
	s_cbranch_execz .LBB13_10
.LBB13_47:                              ;   Parent Loop BB13_12 Depth=1
                                        ; =>  This Loop Header: Depth=2
                                        ;       Child Loop BB13_52 Depth 3
                                        ;       Child Loop BB13_59 Depth 3
                                        ;         Child Loop BB13_61 Depth 4
                                        ;           Child Loop BB13_63 Depth 5
	s_wait_dscnt 0x0
	global_load_b32 v10, v15, s[10:11] scale_offset
	v_mov_b32_e32 v11, s25
	s_wait_xcnt 0x0
	s_and_saveexec_b32 s40, s2
	s_cbranch_execz .LBB13_49
; %bb.48:                               ;   in Loop: Header=BB13_47 Depth=2
	global_load_b32 v11, v[8:9], off
	s_wait_loadcnt 0x0
	v_subrev_nc_u32_e32 v11, s6, v11
.LBB13_49:                              ;   in Loop: Header=BB13_47 Depth=2
	s_wait_xcnt 0x0
	s_or_b32 exec_lo, exec_lo, s40
	s_wait_loadcnt 0x0
	v_subrev_nc_u32_e32 v10, s6, v10
	v_mov_b32_e32 v12, v0
	s_mov_b32 s40, exec_lo
	s_delay_alu instid0(VALU_DEP_2)
	v_cmpx_lt_i32_e64 v11, v10
	s_cbranch_execz .LBB13_55
; %bb.50:                               ;   in Loop: Header=BB13_47 Depth=2
	v_mov_b32_e32 v13, v0
	s_mov_b32 s41, 0
	s_branch .LBB13_52
.LBB13_51:                              ;   in Loop: Header=BB13_52 Depth=3
	s_wait_xcnt 0x0
	s_or_b32 exec_lo, exec_lo, s42
	s_delay_alu instid0(VALU_DEP_1) | instskip(SKIP_2) | instid1(SALU_CYCLE_1)
	v_cmp_ge_i32_e32 vcc_lo, v11, v10
	v_mov_b32_e32 v13, v12
	s_or_b32 s41, vcc_lo, s41
	s_and_not1_b32 exec_lo, exec_lo, s41
	s_cbranch_execz .LBB13_54
.LBB13_52:                              ;   Parent Loop BB13_12 Depth=1
                                        ;     Parent Loop BB13_47 Depth=2
                                        ; =>    This Inner Loop Header: Depth=3
	s_delay_alu instid0(VALU_DEP_1) | instskip(SKIP_1) | instid1(VALU_DEP_1)
	v_dual_mov_b32 v11, s25 :: v_dual_add_nc_u32 v12, 64, v13
	s_mov_b32 s42, exec_lo
	v_cmpx_lt_i32_e64 v12, v19
	s_cbranch_execz .LBB13_51
; %bb.53:                               ;   in Loop: Header=BB13_52 Depth=3
	global_load_b32 v11, v13, s[10:11] offset:256 scale_offset
	s_wait_loadcnt 0x0
	v_subrev_nc_u32_e32 v11, s6, v11
	s_branch .LBB13_51
.LBB13_54:                              ;   in Loop: Header=BB13_47 Depth=2
	s_or_b32 exec_lo, exec_lo, s41
.LBB13_55:                              ;   in Loop: Header=BB13_47 Depth=2
	s_delay_alu instid0(SALU_CYCLE_1)
	s_or_b32 exec_lo, exec_lo, s40
	v_cmp_eq_u32_e32 vcc_lo, v11, v10
	s_cbranch_vccz .LBB13_46
; %bb.56:                               ;   in Loop: Header=BB13_47 Depth=2
	s_ctz_i32_b32 s40, vcc_lo
	s_delay_alu instid0(SALU_CYCLE_1) | instskip(NEXT) | instid1(SALU_CYCLE_1)
	s_lshl_b32 s40, s40, 2
	v_mov_b32_e32 v10, s40
	ds_bpermute_b32 v10, v10, v12
	s_and_saveexec_b32 s40, s0
	s_cbranch_execz .LBB13_45
; %bb.57:                               ;   in Loop: Header=BB13_47 Depth=2
	v_mul_lo_u32 v17, v15, s7
	s_wait_dscnt 0x0
	v_mul_lo_u32 v24, v10, s7
	v_dual_mov_b32 v25, v22 :: v_dual_mov_b32 v26, v18
	s_mov_b32 s41, 0
	s_branch .LBB13_59
.LBB13_58:                              ;   in Loop: Header=BB13_59 Depth=3
	v_dual_add_nc_u32 v26, 64, v26 :: v_dual_add_nc_u32 v25, s31, v25
	s_delay_alu instid0(VALU_DEP_1)
	v_cmp_le_i32_e32 vcc_lo, s7, v26
	s_or_b32 s41, vcc_lo, s41
	s_wait_xcnt 0x0
	s_and_not1_b32 exec_lo, exec_lo, s41
	s_cbranch_execz .LBB13_45
.LBB13_59:                              ;   Parent Loop BB13_12 Depth=1
                                        ;     Parent Loop BB13_47 Depth=2
                                        ; =>    This Loop Header: Depth=3
                                        ;         Child Loop BB13_61 Depth 4
                                        ;           Child Loop BB13_63 Depth 5
	s_delay_alu instid0(VALU_DEP_1) | instskip(SKIP_1) | instid1(VALU_DEP_1)
	v_dual_add_nc_u32 v10, v26, v24 :: v_dual_mov_b32 v28, v16
	s_mov_b32 s42, 0
	v_mul_lo_u32 v27, v10, s7
	s_branch .LBB13_61
.LBB13_60:                              ;   in Loop: Header=BB13_61 Depth=4
	global_load_b64 v[30:31], v12, s[12:13] scale_offset
	s_add_co_i32 s42, s42, 1
	v_add_nc_u32_e32 v28, 1, v28
	s_cmp_eq_u32 s42, s7
	s_wait_loadcnt 0x0
	v_add_f64_e64 v[10:11], v[30:31], -v[10:11]
	global_store_b64 v12, v[10:11], s[12:13] scale_offset
	s_cbranch_scc1 .LBB13_58
.LBB13_61:                              ;   Parent Loop BB13_12 Depth=1
                                        ;     Parent Loop BB13_47 Depth=2
                                        ;       Parent Loop BB13_59 Depth=3
                                        ; =>      This Loop Header: Depth=4
                                        ;           Child Loop BB13_63 Depth 5
	s_wait_xcnt 0x0
	v_dual_add_nc_u32 v10, s42, v17 :: v_dual_mov_b32 v30, v28
	s_mov_b32 s43, 0
	s_delay_alu instid0(VALU_DEP_1)
	v_mul_lo_u32 v29, v10, s7
	v_mov_b64_e32 v[10:11], 0
	s_branch .LBB13_63
.LBB13_62:                              ;   in Loop: Header=BB13_63 Depth=5
	global_load_b64 v[32:33], v31, s[12:13] scale_offset
	v_add_nc_u32_e32 v30, s7, v30
	s_add_co_i32 s43, s43, 1
	s_delay_alu instid0(SALU_CYCLE_1)
	s_cmp_eq_u32 s7, s43
	s_wait_loadcnt 0x0
	v_fmac_f64_e32 v[10:11], v[12:13], v[32:33]
	s_cbranch_scc1 .LBB13_69
.LBB13_63:                              ;   Parent Loop BB13_12 Depth=1
                                        ;     Parent Loop BB13_47 Depth=2
                                        ;       Parent Loop BB13_59 Depth=3
                                        ;         Parent Loop BB13_61 Depth=4
                                        ; =>        This Inner Loop Header: Depth=5
	s_and_b32 vcc_lo, exec_lo, s29
	s_cbranch_vccz .LBB13_68
; %bb.64:                               ;   in Loop: Header=BB13_63 Depth=5
	s_wait_xcnt 0x1
	v_add_nc_u32_e32 v12, s43, v23
	s_delay_alu instid0(VALU_DEP_1)
	v_mad_u32 v12, v12, s7, v26
	s_cbranch_execnz .LBB13_66
.LBB13_65:                              ;   in Loop: Header=BB13_63 Depth=5
	s_wait_xcnt 0x1
	v_add_nc_u32_e32 v12, s43, v25
.LBB13_66:                              ;   in Loop: Header=BB13_63 Depth=5
	global_load_b64 v[12:13], v12, s[12:13] scale_offset
	s_wait_xcnt 0x1
	v_mov_b32_e32 v31, v30
	s_and_not1_b32 vcc_lo, exec_lo, s29
	s_cbranch_vccnz .LBB13_62
; %bb.67:                               ;   in Loop: Header=BB13_63 Depth=5
	v_add_nc_u32_e32 v31, s43, v29
	s_branch .LBB13_62
.LBB13_68:                              ;   in Loop: Header=BB13_63 Depth=5
                                        ; implicit-def: $vgpr12
	s_branch .LBB13_65
.LBB13_69:                              ;   in Loop: Header=BB13_61 Depth=4
	s_and_b32 vcc_lo, exec_lo, s29
	s_cbranch_vccz .LBB13_71
; %bb.70:                               ;   in Loop: Header=BB13_61 Depth=4
	s_wait_xcnt 0x1
	v_add_nc_u32_e32 v12, s42, v24
	s_delay_alu instid0(VALU_DEP_1)
	v_mad_u32 v12, v12, s7, v26
	s_cbranch_execnz .LBB13_60
	s_branch .LBB13_72
.LBB13_71:                              ;   in Loop: Header=BB13_61 Depth=4
                                        ; implicit-def: $vgpr12
.LBB13_72:                              ;   in Loop: Header=BB13_61 Depth=4
	s_wait_xcnt 0x1
	v_add_nc_u32_e32 v12, s42, v27
	s_branch .LBB13_60
.LBB13_73:
	s_or_b32 exec_lo, exec_lo, s35
	s_delay_alu instid0(SALU_CYCLE_1)
	s_and_b32 s2, s36, exec_lo
.LBB13_74:
	s_or_b32 exec_lo, exec_lo, s22
	global_load_b32 v0, v20, s[10:11] scale_offset
	s_wait_kmcnt 0x0
	s_cmp_gt_i32 s7, 0
	s_mov_b32 s8, 0
	s_cselect_b32 s3, -1, 0
	s_wait_loadcnt 0x0
	v_subrev_nc_u32_e32 v0, s6, v0
	s_delay_alu instid0(VALU_DEP_1)
	v_cmp_eq_u32_e32 vcc_lo, v0, v2
	s_and_b32 s0, s3, vcc_lo
	s_wait_xcnt 0x0
	s_and_saveexec_b32 s4, s0
	s_cbranch_execz .LBB13_108
; %bb.75:
	v_cvt_f64_f32_e32 v[0:1], s27
	v_mul_lo_u32 v14, v20, s7
	s_cmp_eq_u64 s[16:17], 8
	s_mul_i32 s0, s7, s7
	s_cselect_b32 vcc_lo, -1, 0
	s_cmp_lg_u32 s24, 0
	v_mad_u32 v15, v20, s0, 1
	s_cselect_b32 s9, -1, 0
	s_add_co_i32 s10, s7, 1
	v_cmp_eq_u32_e64 s0, 0, v18
	s_lshl_b32 s11, s7, 6
	v_dual_mov_b32 v17, 0 :: v_dual_add_nc_u32 v8, v14, v18
	s_add_co_i32 s14, s7, -1
	s_mov_b32 s16, s2
                                        ; implicit-def: $sgpr15
	s_delay_alu instid0(VALU_DEP_1)
	v_mad_u32 v16, s7, v8, s10
	s_wait_dscnt 0x0
	v_dual_cndmask_b32 v1, v1, v7 :: v_dual_cndmask_b32 v0, v0, v6
	s_branch .LBB13_77
.LBB13_76:                              ;   in Loop: Header=BB13_77 Depth=1
	s_or_b32 exec_lo, exec_lo, s1
	s_delay_alu instid0(VALU_DEP_1)
	v_cmp_eq_u32_e32 vcc_lo, s7, v22
	s_add_co_i32 s14, s14, -1
	v_dual_add_nc_u32 v15, s10, v15 :: v_dual_add_nc_u32 v16, s10, v16
	v_mov_b32_e32 v17, v22
	s_or_b32 s8, vcc_lo, s8
	s_and_not1_b32 s1, s15, exec_lo
	s_and_b32 s15, s16, exec_lo
	s_delay_alu instid0(SALU_CYCLE_1)
	s_or_b32 s15, s1, s15
	s_and_not1_b32 exec_lo, exec_lo, s8
	s_cbranch_execz .LBB13_107
.LBB13_77:                              ; =>This Loop Header: Depth=1
                                        ;     Child Loop BB13_87 Depth 2
                                        ;       Child Loop BB13_96 Depth 3
	v_add_nc_u32_e32 v6, v17, v14
	s_mov_b32 s17, 0
	s_and_not1_b32 vcc_lo, exec_lo, s26
	s_mov_b32 s1, 0
	s_mov_b32 s22, -1
	v_mul_lo_u32 v21, v6, s7
                                        ; implicit-def: $vgpr8_vgpr9
	s_delay_alu instid0(VALU_DEP_1)
	v_add_nc_u32_e32 v10, v21, v17
	global_load_b64 v[6:7], v10, s[12:13] scale_offset
	s_cbranch_vccnz .LBB13_81
; %bb.78:                               ;   in Loop: Header=BB13_77 Depth=1
	s_wait_loadcnt 0x0
	v_cmp_ge_f64_e64 vcc_lo, v[0:1], |v[6:7]|
	v_dual_cndmask_b32 v9, v7, v5 :: v_dual_cndmask_b32 v8, v6, v4
	s_wait_xcnt 0x0
	s_and_saveexec_b32 s1, s0
	s_cbranch_execz .LBB13_80
; %bb.79:                               ;   in Loop: Header=BB13_77 Depth=1
	v_ashrrev_i32_e32 v11, 31, v10
	s_delay_alu instid0(VALU_DEP_1)
	v_lshl_add_u64 v[10:11], v[10:11], 3, s[12:13]
	global_store_b64 v[10:11], v[8:9], off
.LBB13_80:                              ;   in Loop: Header=BB13_77 Depth=1
	s_wait_xcnt 0x0
	s_or_b32 exec_lo, exec_lo, s1
	s_mov_b32 s22, 0
	s_mov_b32 s1, -1
.LBB13_81:                              ;   in Loop: Header=BB13_77 Depth=1
	s_and_not1_b32 vcc_lo, exec_lo, s22
	s_cbranch_vccnz .LBB13_83
; %bb.82:                               ;   in Loop: Header=BB13_77 Depth=1
	s_wait_loadcnt 0x0
	v_cmp_neq_f64_e32 vcc_lo, 0, v[6:7]
	s_and_not1_b32 s1, s1, exec_lo
	s_mov_b32 s17, -1
	s_and_b32 s22, vcc_lo, exec_lo
	s_delay_alu instid0(SALU_CYCLE_1) | instskip(SKIP_2) | instid1(SALU_CYCLE_1)
	s_or_b32 s1, s1, s22
                                        ; implicit-def: $vgpr22
	s_wait_xcnt 0x0
	s_and_saveexec_b32 s22, s1
	s_xor_b32 s22, exec_lo, s22
	s_cbranch_execnz .LBB13_84
	s_branch .LBB13_105
.LBB13_83:                              ;   in Loop: Header=BB13_77 Depth=1
	s_wait_loadcnt 0x0
	v_mov_b64_e32 v[6:7], v[8:9]
                                        ; implicit-def: $vgpr22
	s_wait_xcnt 0x0
	s_and_saveexec_b32 s22, s1
	s_delay_alu instid0(SALU_CYCLE_1)
	s_xor_b32 s22, exec_lo, s22
	s_cbranch_execz .LBB13_105
.LBB13_84:                              ;   in Loop: Header=BB13_77 Depth=1
	v_add_nc_u32_e32 v22, 1, v17
	s_mov_b32 s23, exec_lo
	s_delay_alu instid0(VALU_DEP_1) | instskip(NEXT) | instid1(VALU_DEP_1)
	v_add_nc_u32_e32 v23, v22, v18
	v_cmpx_gt_i32_e64 s7, v23
	s_cbranch_execz .LBB13_104
; %bb.85:                               ;   in Loop: Header=BB13_77 Depth=1
	v_cmp_gt_i32_e64 s1, s7, v22
	v_mov_b32_e32 v24, v16
	s_mov_b32 s25, 0
	s_branch .LBB13_87
.LBB13_86:                              ;   in Loop: Header=BB13_87 Depth=2
	s_wait_xcnt 0x0
	s_or_b32 exec_lo, exec_lo, s27
	v_dual_add_nc_u32 v23, 64, v23 :: v_dual_add_nc_u32 v24, s11, v24
	s_delay_alu instid0(VALU_DEP_1) | instskip(SKIP_1) | instid1(SALU_CYCLE_1)
	v_cmp_le_i32_e32 vcc_lo, s7, v23
	s_or_b32 s25, vcc_lo, s25
	s_and_not1_b32 exec_lo, exec_lo, s25
	s_cbranch_execz .LBB13_104
.LBB13_87:                              ;   Parent Loop BB13_77 Depth=1
                                        ; =>  This Loop Header: Depth=2
                                        ;       Child Loop BB13_96 Depth 3
	v_add_nc_u32_e32 v10, v23, v21
	s_and_b32 vcc_lo, exec_lo, s9
	s_cbranch_vccz .LBB13_102
; %bb.88:                               ;   in Loop: Header=BB13_87 Depth=2
	v_add_nc_u32_e32 v8, v23, v21
	s_cbranch_execnz .LBB13_90
.LBB13_89:                              ;   in Loop: Header=BB13_87 Depth=2
	v_add_nc_u32_e32 v8, v23, v14
	s_delay_alu instid0(VALU_DEP_1)
	v_mad_u32 v8, v8, s7, v17
.LBB13_90:                              ;   in Loop: Header=BB13_87 Depth=2
	global_load_b64 v[8:9], v8, s[12:13] scale_offset
	s_and_b32 vcc_lo, exec_lo, s9
	s_cbranch_vccz .LBB13_103
; %bb.91:                               ;   in Loop: Header=BB13_87 Depth=2
	s_cbranch_execnz .LBB13_93
.LBB13_92:                              ;   in Loop: Header=BB13_87 Depth=2
	v_add_nc_u32_e32 v10, v23, v14
	s_delay_alu instid0(VALU_DEP_1)
	v_mad_u32 v10, v10, s7, v17
.LBB13_93:                              ;   in Loop: Header=BB13_87 Depth=2
	s_wait_loadcnt 0x0
	v_div_scale_f64 v[12:13], null, v[6:7], v[6:7], v[8:9]
	s_delay_alu instid0(VALU_DEP_1) | instskip(SKIP_1) | instid1(TRANS32_DEP_1)
	v_rcp_f64_e32 v[26:27], v[12:13]
	v_nop
	v_fma_f64 v[28:29], -v[12:13], v[26:27], 1.0
	s_delay_alu instid0(VALU_DEP_1) | instskip(NEXT) | instid1(VALU_DEP_1)
	v_fmac_f64_e32 v[26:27], v[26:27], v[28:29]
	v_fma_f64 v[28:29], -v[12:13], v[26:27], 1.0
	s_delay_alu instid0(VALU_DEP_1) | instskip(SKIP_1) | instid1(VALU_DEP_1)
	v_fmac_f64_e32 v[26:27], v[26:27], v[28:29]
	v_div_scale_f64 v[28:29], vcc_lo, v[8:9], v[6:7], v[8:9]
	v_mul_f64_e32 v[30:31], v[28:29], v[26:27]
	s_delay_alu instid0(VALU_DEP_1) | instskip(NEXT) | instid1(VALU_DEP_1)
	v_fma_f64 v[12:13], -v[12:13], v[30:31], v[28:29]
	v_div_fmas_f64 v[12:13], v[12:13], v[26:27], v[30:31]
	s_wait_xcnt 0x0
	s_delay_alu instid0(VALU_DEP_1)
	v_div_fixup_f64 v[8:9], v[12:13], v[6:7], v[8:9]
	global_store_b64 v10, v[8:9], s[12:13] scale_offset
	s_wait_xcnt 0x0
	s_and_saveexec_b32 s27, s1
	s_cbranch_execz .LBB13_86
; %bb.94:                               ;   in Loop: Header=BB13_87 Depth=2
	v_dual_mov_b32 v25, v24 :: v_dual_mov_b32 v26, v15
	v_mov_b32_e32 v27, v22
	s_mov_b32 s28, s14
	s_branch .LBB13_96
.LBB13_95:                              ;   in Loop: Header=BB13_96 Depth=3
	s_wait_loadcnt 0x0
	s_wait_xcnt 0x1
	v_dual_fma_f64 v[10:11], -v[8:9], v[10:11], v[12:13] :: v_dual_add_nc_u32 v25, 1, v25
	v_dual_add_nc_u32 v27, 1, v27 :: v_dual_add_nc_u32 v26, 1, v26
	s_add_co_i32 s28, s28, -1
	s_delay_alu instid0(SALU_CYCLE_1)
	s_cmp_eq_u32 s28, 0
	global_store_b64 v29, v[10:11], s[12:13] scale_offset
	s_cbranch_scc1 .LBB13_86
.LBB13_96:                              ;   Parent Loop BB13_77 Depth=1
                                        ;     Parent Loop BB13_87 Depth=2
                                        ; =>    This Inner Loop Header: Depth=3
	s_wait_xcnt 0x0
	s_delay_alu instid0(VALU_DEP_1)
	v_dual_add_nc_u32 v12, v27, v14 :: v_dual_mov_b32 v10, v26
	s_and_not1_b32 vcc_lo, exec_lo, s9
	s_cbranch_vccnz .LBB13_98
; %bb.97:                               ;   in Loop: Header=BB13_96 Depth=3
	s_delay_alu instid0(VALU_DEP_1)
	v_mad_u32 v10, v12, s7, v17
.LBB13_98:                              ;   in Loop: Header=BB13_96 Depth=3
	global_load_b64 v[10:11], v10, s[12:13] scale_offset
	v_mad_u32 v28, v12, s7, v23
	v_mov_b32_e32 v13, v25
	s_and_not1_b32 vcc_lo, exec_lo, s9
	s_cbranch_vccnz .LBB13_100
; %bb.99:                               ;   in Loop: Header=BB13_96 Depth=3
	v_mad_u32 v13, v12, s7, v23
.LBB13_100:                             ;   in Loop: Header=BB13_96 Depth=3
	global_load_b64 v[12:13], v13, s[12:13] scale_offset
	v_mov_b32_e32 v29, v25
	s_and_not1_b32 vcc_lo, exec_lo, s9
	s_cbranch_vccnz .LBB13_95
; %bb.101:                              ;   in Loop: Header=BB13_96 Depth=3
	v_mov_b32_e32 v29, v28
	s_branch .LBB13_95
.LBB13_102:                             ;   in Loop: Header=BB13_87 Depth=2
                                        ; implicit-def: $vgpr8
	s_branch .LBB13_89
.LBB13_103:                             ;   in Loop: Header=BB13_87 Depth=2
                                        ; implicit-def: $vgpr10
	s_branch .LBB13_92
.LBB13_104:                             ;   in Loop: Header=BB13_77 Depth=1
	s_or_b32 exec_lo, exec_lo, s23
	s_delay_alu instid0(SALU_CYCLE_1)
	s_and_not1_b32 s17, s17, exec_lo
.LBB13_105:                             ;   in Loop: Header=BB13_77 Depth=1
	s_or_b32 exec_lo, exec_lo, s22
	s_delay_alu instid0(SALU_CYCLE_1) | instskip(SKIP_1) | instid1(SALU_CYCLE_1)
	s_and_not1_b32 s1, s16, exec_lo
	s_and_b32 s16, s16, exec_lo
	s_or_b32 s16, s1, s16
	s_and_saveexec_b32 s1, s17
	s_cbranch_execz .LBB13_76
; %bb.106:                              ;   in Loop: Header=BB13_77 Depth=1
	v_add_nc_u32_e32 v22, 1, v17
	s_or_b32 s16, s16, exec_lo
	s_branch .LBB13_76
.LBB13_107:
	s_or_b32 exec_lo, exec_lo, s8
	s_delay_alu instid0(SALU_CYCLE_1) | instskip(SKIP_1) | instid1(SALU_CYCLE_1)
	s_and_not1_b32 s0, s2, exec_lo
	s_and_b32 s1, s15, exec_lo
	s_or_b32 s2, s0, s1
.LBB13_108:
	s_or_b32 exec_lo, exec_lo, s4
	v_add_nc_u32_e32 v8, 1, v20
	s_mov_b32 s1, exec_lo
	s_delay_alu instid0(VALU_DEP_1)
	v_cmpx_lt_i32_e64 v8, v19
	s_cbranch_execz .LBB13_132
; %bb.109:
	v_mul_lo_u32 v9, v20, s7
	s_mul_i32 s4, s7, s7
	v_cmp_gt_i32_e64 s0, s7, v18
	v_mul_lo_u32 v0, s4, v8
	s_cmp_lg_u32 s24, 0
	s_mov_b32 s8, 0
	s_cselect_b32 s9, -1, 0
	s_add_co_i32 s10, s7, 1
	s_add_co_i32 s11, s7, -1
	s_wait_dscnt 0x0
	v_mad_u32 v10, s7, v9, s7
	s_delay_alu instid0(VALU_DEP_2)
	v_add3_u32 v11, v0, s7, v18
	s_branch .LBB13_111
.LBB13_110:                             ;   in Loop: Header=BB13_111 Depth=1
	s_delay_alu instid0(VALU_DEP_1) | instskip(NEXT) | instid1(VALU_DEP_1)
	v_dual_add_nc_u32 v8, 1, v8 :: v_dual_add_nc_u32 v11, s4, v11
	v_cmp_ge_i32_e32 vcc_lo, v8, v19
	s_or_b32 s8, vcc_lo, s8
	s_delay_alu instid0(SALU_CYCLE_1)
	s_and_not1_b32 exec_lo, exec_lo, s8
	s_cbranch_execz .LBB13_132
.LBB13_111:                             ; =>This Loop Header: Depth=1
                                        ;     Child Loop BB13_114 Depth 2
                                        ;       Child Loop BB13_117 Depth 3
                                        ;         Child Loop BB13_120 Depth 4
	s_and_not1_b32 vcc_lo, exec_lo, s3
	s_cbranch_vccnz .LBB13_110
; %bb.112:                              ;   in Loop: Header=BB13_111 Depth=1
	v_mul_lo_u32 v12, v8, s7
	s_delay_alu instid0(VALU_DEP_3)
	v_dual_mov_b32 v13, v11 :: v_dual_mov_b32 v14, v10
	s_mov_b32 s15, 0
	s_mov_b32 s14, s11
	s_branch .LBB13_114
.LBB13_113:                             ;   in Loop: Header=BB13_114 Depth=2
	s_or_b32 exec_lo, exec_lo, s17
	v_dual_add_nc_u32 v14, s10, v14 :: v_dual_add_nc_u32 v13, s7, v13
	s_add_co_i32 s14, s14, -1
	s_cmp_eq_u32 s16, s7
	s_mov_b32 s15, s16
	s_cbranch_scc1 .LBB13_110
.LBB13_114:                             ;   Parent Loop BB13_111 Depth=1
                                        ; =>  This Loop Header: Depth=2
                                        ;       Child Loop BB13_117 Depth 3
                                        ;         Child Loop BB13_120 Depth 4
	s_add_co_i32 s16, s15, 1
	s_and_saveexec_b32 s17, s0
	s_cbranch_execz .LBB13_113
; %bb.115:                              ;   in Loop: Header=BB13_114 Depth=2
	s_delay_alu instid0(VALU_DEP_2) | instskip(SKIP_2) | instid1(VALU_DEP_2)
	v_dual_add_nc_u32 v0, s15, v9 :: v_dual_add_nc_u32 v1, s15, v12
	v_dual_mov_b32 v17, v13 :: v_dual_mov_b32 v20, v18
	s_cmp_lt_i32 s16, s7
	v_mul_lo_u32 v15, v0, s7
	s_delay_alu instid0(VALU_DEP_3)
	v_mul_lo_u32 v16, v1, s7
	s_cselect_b32 s22, -1, 0
	s_mov_b32 s23, 0
	s_branch .LBB13_117
.LBB13_116:                             ;   in Loop: Header=BB13_117 Depth=3
	v_dual_add_nc_u32 v20, 64, v20 :: v_dual_add_nc_u32 v17, 64, v17
	s_delay_alu instid0(VALU_DEP_1)
	v_cmp_le_i32_e32 vcc_lo, s7, v20
	s_or_b32 s23, vcc_lo, s23
	s_wait_xcnt 0x0
	s_and_not1_b32 exec_lo, exec_lo, s23
	s_cbranch_execz .LBB13_113
.LBB13_117:                             ;   Parent Loop BB13_111 Depth=1
                                        ;     Parent Loop BB13_114 Depth=2
                                        ; =>    This Loop Header: Depth=3
                                        ;         Child Loop BB13_120 Depth 4
	s_and_not1_b32 vcc_lo, exec_lo, s22
	s_cbranch_vccnz .LBB13_116
; %bb.118:                              ;   in Loop: Header=BB13_117 Depth=3
	v_add_nc_u32_e32 v0, v20, v12
	s_delay_alu instid0(VALU_DEP_2) | instskip(SKIP_4) | instid1(VALU_DEP_1)
	v_add_nc_u32_e32 v23, v20, v16
	s_mov_b32 s24, 0
	s_mov_b32 s25, s14
	;; [unrolled: 1-line block ×3, first 2 shown]
	v_mul_lo_u32 v21, v0, s7
	v_add_nc_u32_e32 v22, s15, v21
	s_branch .LBB13_120
.LBB13_119:                             ;   in Loop: Header=BB13_120 Depth=4
	s_wait_loadcnt 0x0
	v_fma_f64 v[0:1], -v[0:1], v[4:5], v[6:7]
	s_add_co_i32 s25, s25, -1
	s_add_co_i32 s26, s26, 1
	s_add_co_i32 s24, s24, s7
	s_cmp_eq_u32 s25, 0
	global_store_b64 v24, v[0:1], s[12:13] scale_offset
	s_cbranch_scc1 .LBB13_116
.LBB13_120:                             ;   Parent Loop BB13_111 Depth=1
                                        ;     Parent Loop BB13_114 Depth=2
                                        ;       Parent Loop BB13_117 Depth=3
                                        ; =>      This Inner Loop Header: Depth=4
	s_and_b32 vcc_lo, exec_lo, s9
	s_cbranch_vccz .LBB13_128
; %bb.121:                              ;   in Loop: Header=BB13_120 Depth=4
	s_wait_xcnt 0x1
	v_add_nc_u32_e32 v6, s26, v15
	v_mov_b32_e32 v7, v22
	s_cbranch_execnz .LBB13_123
.LBB13_122:                             ;   in Loop: Header=BB13_120 Depth=4
	s_wait_xcnt 0x1
	v_dual_mov_b32 v7, v23 :: v_dual_add_nc_u32 v6, s24, v14
.LBB13_123:                             ;   in Loop: Header=BB13_120 Depth=4
	s_clause 0x1
	global_load_b64 v[0:1], v6, s[12:13] scale_offset
	global_load_b64 v[4:5], v7, s[12:13] scale_offset
	v_add_nc_u32_e32 v24, s26, v21
	s_and_b32 vcc_lo, exec_lo, s9
	s_cbranch_vccz .LBB13_129
; %bb.124:                              ;   in Loop: Header=BB13_120 Depth=4
	s_wait_xcnt 0x1
	v_add_nc_u32_e32 v6, s26, v21
	v_add_nc_u32_e32 v25, s24, v17
	s_cbranch_execnz .LBB13_126
.LBB13_125:                             ;   in Loop: Header=BB13_120 Depth=4
	s_wait_xcnt 0x1
	v_add_nc_u32_e32 v6, s24, v17
.LBB13_126:                             ;   in Loop: Header=BB13_120 Depth=4
	global_load_b64 v[6:7], v6, s[12:13] scale_offset
	s_and_b32 vcc_lo, exec_lo, s9
	s_cbranch_vccz .LBB13_130
; %bb.127:                              ;   in Loop: Header=BB13_120 Depth=4
	s_cbranch_execnz .LBB13_119
	s_branch .LBB13_131
.LBB13_128:                             ;   in Loop: Header=BB13_120 Depth=4
                                        ; implicit-def: $vgpr6
	s_delay_alu instid0(VALU_DEP_1)
	v_mov_b32_e32 v7, v22
	s_branch .LBB13_122
.LBB13_129:                             ;   in Loop: Header=BB13_120 Depth=4
                                        ; implicit-def: $vgpr6
	v_add_nc_u32_e32 v25, s24, v17
	s_branch .LBB13_125
.LBB13_130:                             ;   in Loop: Header=BB13_120 Depth=4
                                        ; implicit-def: $vgpr24
.LBB13_131:                             ;   in Loop: Header=BB13_120 Depth=4
	v_mov_b32_e32 v24, v25
	s_branch .LBB13_119
.LBB13_132:
	s_or_b32 exec_lo, exec_lo, s1
	s_delay_alu instid0(SALU_CYCLE_1)
	s_or_not1_b32 s2, s2, exec_lo
.LBB13_133:
	s_or_b32 exec_lo, exec_lo, s5
	v_cmp_eq_u32_e32 vcc_lo, 0, v18
	s_and_b32 exec_lo, exec_lo, vcc_lo
	s_cbranch_execz .LBB13_139
; %bb.134:
	v_lshl_add_u64 v[0:1], v[2:3], 2, s[20:21]
	v_mov_b32_e32 v3, 1
	global_wb scope:SCOPE_DEV
	s_wait_storecnt_dscnt 0x0
	global_store_b32 v[0:1], v3, off scope:SCOPE_DEV
	s_wait_xcnt 0x0
	s_and_b32 exec_lo, exec_lo, s2
	s_cbranch_execz .LBB13_139
; %bb.135:
	v_add_nc_u32_e32 v0, s6, v2
	s_mov_b32 s1, exec_lo
	s_brev_b32 s0, -2
.LBB13_136:                             ; =>This Inner Loop Header: Depth=1
	s_ctz_i32_b32 s2, s1
	s_delay_alu instid0(VALU_DEP_1) | instid1(SALU_CYCLE_1)
	v_readlane_b32 s3, v0, s2
	s_lshl_b32 s2, 1, s2
	s_delay_alu instid0(SALU_CYCLE_1)
	s_and_not1_b32 s1, s1, s2
	s_min_i32 s0, s0, s3
	s_cmp_lg_u32 s1, 0
	s_cbranch_scc1 .LBB13_136
; %bb.137:
	v_mbcnt_lo_u32_b32 v0, exec_lo, 0
	s_mov_b32 s1, exec_lo
	s_delay_alu instid0(VALU_DEP_1)
	v_cmpx_eq_u32_e32 0, v0
	s_xor_b32 s1, exec_lo, s1
	s_cbranch_execz .LBB13_139
; %bb.138:
	v_dual_mov_b32 v0, 0 :: v_dual_mov_b32 v1, s0
	global_atomic_min_i32 v0, v1, s[18:19] scope:SCOPE_DEV
.LBB13_139:
	s_endpgm
	.section	.rodata,"a",@progbits
	.p2align	6, 0x0
	.amdhsa_kernel _ZN9rocsparseL15bsrilu0_generalILj128ELj64ELb0EdEEv20rocsparse_direction_iPKiS3_PT2_S3_iPiS3_S6_21rocsparse_index_base_imNS_24const_host_device_scalarIfEENS8_IdEENS8_IS4_EEb
		.amdhsa_group_segment_fixed_size 0
		.amdhsa_private_segment_fixed_size 0
		.amdhsa_kernarg_size 116
		.amdhsa_user_sgpr_count 2
		.amdhsa_user_sgpr_dispatch_ptr 0
		.amdhsa_user_sgpr_queue_ptr 0
		.amdhsa_user_sgpr_kernarg_segment_ptr 1
		.amdhsa_user_sgpr_dispatch_id 0
		.amdhsa_user_sgpr_kernarg_preload_length 0
		.amdhsa_user_sgpr_kernarg_preload_offset 0
		.amdhsa_user_sgpr_private_segment_size 0
		.amdhsa_wavefront_size32 1
		.amdhsa_uses_dynamic_stack 0
		.amdhsa_enable_private_segment 0
		.amdhsa_system_sgpr_workgroup_id_x 1
		.amdhsa_system_sgpr_workgroup_id_y 0
		.amdhsa_system_sgpr_workgroup_id_z 0
		.amdhsa_system_sgpr_workgroup_info 0
		.amdhsa_system_vgpr_workitem_id 0
		.amdhsa_next_free_vgpr 40
		.amdhsa_next_free_sgpr 45
		.amdhsa_named_barrier_count 0
		.amdhsa_reserve_vcc 1
		.amdhsa_float_round_mode_32 0
		.amdhsa_float_round_mode_16_64 0
		.amdhsa_float_denorm_mode_32 3
		.amdhsa_float_denorm_mode_16_64 3
		.amdhsa_fp16_overflow 0
		.amdhsa_memory_ordered 1
		.amdhsa_forward_progress 1
		.amdhsa_inst_pref_size 31
		.amdhsa_round_robin_scheduling 0
		.amdhsa_exception_fp_ieee_invalid_op 0
		.amdhsa_exception_fp_denorm_src 0
		.amdhsa_exception_fp_ieee_div_zero 0
		.amdhsa_exception_fp_ieee_overflow 0
		.amdhsa_exception_fp_ieee_underflow 0
		.amdhsa_exception_fp_ieee_inexact 0
		.amdhsa_exception_int_div_zero 0
	.end_amdhsa_kernel
	.section	.text._ZN9rocsparseL15bsrilu0_generalILj128ELj64ELb0EdEEv20rocsparse_direction_iPKiS3_PT2_S3_iPiS3_S6_21rocsparse_index_base_imNS_24const_host_device_scalarIfEENS8_IdEENS8_IS4_EEb,"axG",@progbits,_ZN9rocsparseL15bsrilu0_generalILj128ELj64ELb0EdEEv20rocsparse_direction_iPKiS3_PT2_S3_iPiS3_S6_21rocsparse_index_base_imNS_24const_host_device_scalarIfEENS8_IdEENS8_IS4_EEb,comdat
.Lfunc_end13:
	.size	_ZN9rocsparseL15bsrilu0_generalILj128ELj64ELb0EdEEv20rocsparse_direction_iPKiS3_PT2_S3_iPiS3_S6_21rocsparse_index_base_imNS_24const_host_device_scalarIfEENS8_IdEENS8_IS4_EEb, .Lfunc_end13-_ZN9rocsparseL15bsrilu0_generalILj128ELj64ELb0EdEEv20rocsparse_direction_iPKiS3_PT2_S3_iPiS3_S6_21rocsparse_index_base_imNS_24const_host_device_scalarIfEENS8_IdEENS8_IS4_EEb
                                        ; -- End function
	.set _ZN9rocsparseL15bsrilu0_generalILj128ELj64ELb0EdEEv20rocsparse_direction_iPKiS3_PT2_S3_iPiS3_S6_21rocsparse_index_base_imNS_24const_host_device_scalarIfEENS8_IdEENS8_IS4_EEb.num_vgpr, 40
	.set _ZN9rocsparseL15bsrilu0_generalILj128ELj64ELb0EdEEv20rocsparse_direction_iPKiS3_PT2_S3_iPiS3_S6_21rocsparse_index_base_imNS_24const_host_device_scalarIfEENS8_IdEENS8_IS4_EEb.num_agpr, 0
	.set _ZN9rocsparseL15bsrilu0_generalILj128ELj64ELb0EdEEv20rocsparse_direction_iPKiS3_PT2_S3_iPiS3_S6_21rocsparse_index_base_imNS_24const_host_device_scalarIfEENS8_IdEENS8_IS4_EEb.numbered_sgpr, 45
	.set _ZN9rocsparseL15bsrilu0_generalILj128ELj64ELb0EdEEv20rocsparse_direction_iPKiS3_PT2_S3_iPiS3_S6_21rocsparse_index_base_imNS_24const_host_device_scalarIfEENS8_IdEENS8_IS4_EEb.num_named_barrier, 0
	.set _ZN9rocsparseL15bsrilu0_generalILj128ELj64ELb0EdEEv20rocsparse_direction_iPKiS3_PT2_S3_iPiS3_S6_21rocsparse_index_base_imNS_24const_host_device_scalarIfEENS8_IdEENS8_IS4_EEb.private_seg_size, 0
	.set _ZN9rocsparseL15bsrilu0_generalILj128ELj64ELb0EdEEv20rocsparse_direction_iPKiS3_PT2_S3_iPiS3_S6_21rocsparse_index_base_imNS_24const_host_device_scalarIfEENS8_IdEENS8_IS4_EEb.uses_vcc, 1
	.set _ZN9rocsparseL15bsrilu0_generalILj128ELj64ELb0EdEEv20rocsparse_direction_iPKiS3_PT2_S3_iPiS3_S6_21rocsparse_index_base_imNS_24const_host_device_scalarIfEENS8_IdEENS8_IS4_EEb.uses_flat_scratch, 0
	.set _ZN9rocsparseL15bsrilu0_generalILj128ELj64ELb0EdEEv20rocsparse_direction_iPKiS3_PT2_S3_iPiS3_S6_21rocsparse_index_base_imNS_24const_host_device_scalarIfEENS8_IdEENS8_IS4_EEb.has_dyn_sized_stack, 0
	.set _ZN9rocsparseL15bsrilu0_generalILj128ELj64ELb0EdEEv20rocsparse_direction_iPKiS3_PT2_S3_iPiS3_S6_21rocsparse_index_base_imNS_24const_host_device_scalarIfEENS8_IdEENS8_IS4_EEb.has_recursion, 0
	.set _ZN9rocsparseL15bsrilu0_generalILj128ELj64ELb0EdEEv20rocsparse_direction_iPKiS3_PT2_S3_iPiS3_S6_21rocsparse_index_base_imNS_24const_host_device_scalarIfEENS8_IdEENS8_IS4_EEb.has_indirect_call, 0
	.section	.AMDGPU.csdata,"",@progbits
; Kernel info:
; codeLenInByte = 3936
; TotalNumSgprs: 47
; NumVgprs: 40
; ScratchSize: 0
; MemoryBound: 0
; FloatMode: 240
; IeeeMode: 1
; LDSByteSize: 0 bytes/workgroup (compile time only)
; SGPRBlocks: 0
; VGPRBlocks: 2
; NumSGPRsForWavesPerEU: 47
; NumVGPRsForWavesPerEU: 40
; NamedBarCnt: 0
; Occupancy: 16
; WaveLimiterHint : 1
; COMPUTE_PGM_RSRC2:SCRATCH_EN: 0
; COMPUTE_PGM_RSRC2:USER_SGPR: 2
; COMPUTE_PGM_RSRC2:TRAP_HANDLER: 0
; COMPUTE_PGM_RSRC2:TGID_X_EN: 1
; COMPUTE_PGM_RSRC2:TGID_Y_EN: 0
; COMPUTE_PGM_RSRC2:TGID_Z_EN: 0
; COMPUTE_PGM_RSRC2:TIDIG_COMP_CNT: 0
	.section	.text._ZN9rocsparseL15bsrilu0_generalILj128ELj64ELb1E21rocsparse_complex_numIfEEEv20rocsparse_direction_iPKiS5_PT2_S5_iPiS5_S8_21rocsparse_index_base_imNS_24const_host_device_scalarIfEENSA_IdEENSA_IS6_EEb,"axG",@progbits,_ZN9rocsparseL15bsrilu0_generalILj128ELj64ELb1E21rocsparse_complex_numIfEEEv20rocsparse_direction_iPKiS5_PT2_S5_iPiS5_S8_21rocsparse_index_base_imNS_24const_host_device_scalarIfEENSA_IdEENSA_IS6_EEb,comdat
	.globl	_ZN9rocsparseL15bsrilu0_generalILj128ELj64ELb1E21rocsparse_complex_numIfEEEv20rocsparse_direction_iPKiS5_PT2_S5_iPiS5_S8_21rocsparse_index_base_imNS_24const_host_device_scalarIfEENSA_IdEENSA_IS6_EEb ; -- Begin function _ZN9rocsparseL15bsrilu0_generalILj128ELj64ELb1E21rocsparse_complex_numIfEEEv20rocsparse_direction_iPKiS5_PT2_S5_iPiS5_S8_21rocsparse_index_base_imNS_24const_host_device_scalarIfEENSA_IdEENSA_IS6_EEb
	.p2align	8
	.type	_ZN9rocsparseL15bsrilu0_generalILj128ELj64ELb1E21rocsparse_complex_numIfEEEv20rocsparse_direction_iPKiS5_PT2_S5_iPiS5_S8_21rocsparse_index_base_imNS_24const_host_device_scalarIfEENSA_IdEENSA_IS6_EEb,@function
_ZN9rocsparseL15bsrilu0_generalILj128ELj64ELb1E21rocsparse_complex_numIfEEEv20rocsparse_direction_iPKiS5_PT2_S5_iPiS5_S8_21rocsparse_index_base_imNS_24const_host_device_scalarIfEENSA_IdEENSA_IS6_EEb: ; @_ZN9rocsparseL15bsrilu0_generalILj128ELj64ELb1E21rocsparse_complex_numIfEEEv20rocsparse_direction_iPKiS5_PT2_S5_iPiS5_S8_21rocsparse_index_base_imNS_24const_host_device_scalarIfEENSA_IdEENSA_IS6_EEb
; %bb.0:
	s_clause 0x2
	s_load_b32 s2, s[0:1], 0x70
	s_load_b64 s[6:7], s[0:1], 0x48
	s_load_b256 s[16:23], s[0:1], 0x50
	s_wait_kmcnt 0x0
	s_bitcmp1_b32 s2, 0
	s_cselect_b32 s4, -1, 0
	s_cmp_eq_u32 s7, 0
	s_cselect_b32 s2, -1, 0
	s_cmp_lg_u32 s7, 0
	s_cselect_b32 s5, -1, 0
	s_or_b32 s8, s2, s4
	s_delay_alu instid0(SALU_CYCLE_1)
	s_xor_b32 s7, s8, -1
	s_and_b32 s2, s2, exec_lo
	s_cselect_b32 s3, 0, s21
	s_cselect_b32 s2, 0, s20
	;; [unrolled: 1-line block ×3, first 2 shown]
	s_and_b32 vcc_lo, exec_lo, s8
	s_cbranch_vccnz .LBB14_2
; %bb.1:
	s_load_b32 s28, s[18:19], 0x0
	s_mov_b64 s[2:3], s[20:21]
.LBB14_2:
	s_delay_alu instid0(SALU_CYCLE_1)
	v_mov_b64_e32 v[4:5], s[2:3]
	s_and_not1_b32 vcc_lo, exec_lo, s7
	s_cbranch_vccnz .LBB14_4
; %bb.3:
	v_mov_b32_e32 v1, 0
	flat_load_b64 v[4:5], v1, s[20:21]
.LBB14_4:
	v_cndmask_b32_e64 v24, 0, 1, s5
	s_mov_b32 s26, 0
	s_and_not1_b32 vcc_lo, exec_lo, s5
	s_mov_b32 s27, s26
	s_cbranch_vccnz .LBB14_10
; %bb.5:
	s_xor_b32 s2, s4, -1
	s_mov_b32 s26, s22
	s_wait_xcnt 0x0
	v_cndmask_b32_e64 v1, 0, 1, s2
	s_and_not1_b32 vcc_lo, exec_lo, s2
	s_cbranch_vccnz .LBB14_7
; %bb.6:
	s_load_b32 s26, s[22:23], 0x0
.LBB14_7:
	s_delay_alu instid0(VALU_DEP_1)
	v_cmp_ne_u32_e32 vcc_lo, 1, v1
	s_cbranch_vccnz .LBB14_9
; %bb.8:
	s_wait_xcnt 0x0
	s_load_b32 s23, s[22:23], 0x4
.LBB14_9:
	s_wait_kmcnt 0x0
	s_mov_b32 s27, s23
.LBB14_10:
	s_load_b64 s[24:25], s[0:1], 0x0
	s_bfe_u32 s2, ttmp6, 0x4000c
	s_and_b32 s3, ttmp6, 15
	s_add_co_i32 s2, s2, 1
	s_getreg_b32 s4, hwreg(HW_REG_IB_STS2, 6, 4)
	s_mul_i32 s2, ttmp9, s2
	v_lshrrev_b32_e32 v1, 6, v0
	s_add_co_i32 s3, s3, s2
	s_cmp_eq_u32 s4, 0
	s_cselect_b32 s2, ttmp9, s3
	s_delay_alu instid0(SALU_CYCLE_1) | instskip(NEXT) | instid1(SALU_CYCLE_1)
	s_lshl_b32 s2, s2, 1
	v_and_or_b32 v1, 0x3fffffe, s2, v1
	s_mov_b32 s2, exec_lo
	s_wait_kmcnt 0x0
	s_delay_alu instid0(VALU_DEP_1)
	v_cmpx_gt_i32_e64 s25, v1
	s_cbranch_execz .LBB14_151
; %bb.11:
	s_clause 0x2
	s_load_b128 s[20:23], s[0:1], 0x30
	s_load_b64 s[18:19], s[0:1], 0x40
	s_load_b256 s[8:15], s[0:1], 0x8
	s_mov_b32 s2, -1
	s_mov_b32 s5, exec_lo
	s_wait_kmcnt 0x0
	global_load_b32 v2, v1, s[22:23] scale_offset
	s_wait_loadcnt 0x0
	v_dual_ashrrev_i32 v3, 31, v2 :: v_dual_bitop2_b32 v22, 63, v0 bitop3:0x40
	global_load_b32 v25, v2, s[14:15] scale_offset
	s_wait_loadcnt 0x0
	v_cmpx_ne_u32_e32 -1, v25
	s_cbranch_execz .LBB14_145
; %bb.12:
	v_lshl_add_u64 v[0:1], v[2:3], 2, s[8:9]
	s_load_b32 s7, s[0:1], 0x28
	s_mov_b32 s2, 0
	s_mov_b32 s22, exec_lo
	global_load_b64 v[0:1], v[0:1], off
	s_wait_loadcnt 0x0
	v_subrev_nc_u32_e32 v26, s6, v0
	v_subrev_nc_u32_e32 v23, s6, v1
	s_delay_alu instid0(VALU_DEP_2)
	v_cmpx_lt_i32_e64 v26, v25
	s_cbranch_execz .LBB14_80
; %bb.13:
	s_wait_kmcnt 0x0
	v_mad_u32 v1, s7, v26, v22
	s_cmp_gt_i32 s7, 0
	v_cmp_gt_i32_e64 s0, s7, v22
	v_cmp_le_i32_e64 s1, s7, v22
	s_cselect_b32 s29, -1, 0
	s_cmp_lg_u32 s24, 0
	s_mov_b32 s36, 0
	s_mul_i32 s23, s7, s7
	s_cselect_b32 s30, -1, 0
	s_add_co_i32 s25, s25, 1
	s_add_co_i32 s31, s7, 1
	v_mul_lo_u32 v27, s7, v1
	v_add_nc_u32_e32 v0, v26, v22
	s_lshl_b32 s33, s7, 6
	s_add_co_i32 s34, s7, -1
	s_mov_b32 s35, 0
                                        ; implicit-def: $sgpr37
                                        ; implicit-def: $sgpr38
	s_delay_alu instid0(VALU_DEP_1) | instskip(NEXT) | instid1(VALU_DEP_1)
	v_ashrrev_i32_e32 v1, 31, v0
	v_lshl_add_u64 v[6:7], v[0:1], 2, s[10:11]
	s_delay_alu instid0(VALU_DEP_4)
	v_add_nc_u32_e32 v1, 1, v27
	v_cmp_lt_i32_e64 s2, v0, v23
	s_branch .LBB14_16
.LBB14_14:                              ;   in Loop: Header=BB14_16 Depth=1
	s_or_b32 exec_lo, exec_lo, s4
	s_delay_alu instid0(SALU_CYCLE_1) | instskip(SKIP_1) | instid1(SALU_CYCLE_1)
	s_and_not1_b32 s4, s38, exec_lo
	s_and_b32 s36, s36, exec_lo
	s_or_b32 s38, s4, s36
.LBB14_15:                              ;   in Loop: Header=BB14_16 Depth=1
	s_or_b32 exec_lo, exec_lo, s39
	v_dual_add_nc_u32 v26, 1, v26 :: v_dual_add_nc_u32 v1, s23, v1
	s_xor_b32 s3, s3, -1
	v_add_nc_u32_e32 v27, s23, v27
	s_mov_b32 s36, s38
	s_delay_alu instid0(VALU_DEP_2) | instskip(SKIP_1) | instid1(SALU_CYCLE_1)
	v_cmp_ge_i32_e32 vcc_lo, v26, v25
	s_or_b32 s3, s3, vcc_lo
	s_and_b32 s3, exec_lo, s3
	s_delay_alu instid0(SALU_CYCLE_1) | instskip(SKIP_2) | instid1(SALU_CYCLE_1)
	s_or_b32 s35, s3, s35
	s_and_not1_b32 s3, s37, exec_lo
	s_and_b32 s4, s38, exec_lo
	s_or_b32 s37, s3, s4
	s_and_not1_b32 exec_lo, exec_lo, s35
	s_cbranch_execz .LBB14_79
.LBB14_16:                              ; =>This Loop Header: Depth=1
                                        ;     Child Loop BB14_20 Depth 2
                                        ;       Child Loop BB14_21 Depth 3
                                        ;     Child Loop BB14_26 Depth 2
                                        ;       Child Loop BB14_31 Depth 3
                                        ;         Child Loop BB14_40 Depth 4
                                        ;     Child Loop BB14_53 Depth 2
                                        ;       Child Loop BB14_58 Depth 3
                                        ;       Child Loop BB14_65 Depth 3
                                        ;         Child Loop BB14_67 Depth 4
                                        ;           Child Loop BB14_69 Depth 5
	s_wait_dscnt 0x0
	global_load_b32 v8, v26, s[10:11] scale_offset
	s_or_b32 s38, s38, exec_lo
	s_wait_loadcnt 0x0
	v_subrev_nc_u32_e32 v8, s6, v8
	global_load_b32 v29, v8, s[14:15] scale_offset
	s_wait_loadcnt 0x0
	v_cmp_ne_u32_e64 s3, -1, v29
	s_wait_xcnt 0x0
	s_and_saveexec_b32 s39, s3
	s_cbranch_execz .LBB14_15
; %bb.17:                               ;   in Loop: Header=BB14_16 Depth=1
	v_ashrrev_i32_e32 v9, 31, v8
	s_mov_b32 s4, exec_lo
	s_delay_alu instid0(VALU_DEP_1) | instskip(NEXT) | instid1(VALU_DEP_1)
	v_lshlrev_b64_e32 v[8:9], 2, v[8:9]
	v_add_nc_u64_e32 v[10:11], s[8:9], v[8:9]
	v_add_nc_u64_e32 v[8:9], s[20:21], v[8:9]
	global_load_b32 v30, v[10:11], off offset:4
	global_load_b32 v12, v[8:9], off scope:SCOPE_DEV
	s_wait_loadcnt 0x0
	s_wait_xcnt 0x0
	v_cmpx_eq_u32_e32 0, v12
	s_cbranch_execz .LBB14_22
; %bb.18:                               ;   in Loop: Header=BB14_16 Depth=1
	s_mov_b32 s40, 0
	s_mov_b32 s41, 0
	s_branch .LBB14_20
.LBB14_19:                              ;   in Loop: Header=BB14_20 Depth=2
	global_load_b32 v10, v[8:9], off scope:SCOPE_DEV
	s_cmp_lt_u32 s41, 0xf43
	s_cselect_b32 s42, -1, 0
	s_delay_alu instid0(SALU_CYCLE_1)
	s_cmp_lg_u32 s42, 0
	s_add_co_ci_u32 s41, s41, 0
	s_wait_loadcnt 0x0
	v_cmp_ne_u32_e32 vcc_lo, 0, v10
	s_or_b32 s40, vcc_lo, s40
	s_wait_xcnt 0x0
	s_and_not1_b32 exec_lo, exec_lo, s40
	s_cbranch_execz .LBB14_22
.LBB14_20:                              ;   Parent Loop BB14_16 Depth=1
                                        ; =>  This Loop Header: Depth=2
                                        ;       Child Loop BB14_21 Depth 3
	s_cmp_eq_u32 s41, 0
	s_mov_b32 s42, s41
	s_cbranch_scc1 .LBB14_19
.LBB14_21:                              ;   Parent Loop BB14_16 Depth=1
                                        ;     Parent Loop BB14_20 Depth=2
                                        ; =>    This Inner Loop Header: Depth=3
	s_add_co_i32 s42, s42, -1
	s_sleep 1
	s_cmp_eq_u32 s42, 0
	s_cbranch_scc0 .LBB14_21
	s_branch .LBB14_19
.LBB14_22:                              ;   in Loop: Header=BB14_16 Depth=1
	s_or_b32 exec_lo, exec_lo, s4
	v_mul_lo_u32 v28, v26, s7
	s_and_not1_b32 vcc_lo, exec_lo, s29
	s_wait_dscnt 0x0
	global_inv scope:SCOPE_DEV
	s_cbranch_vccnz .LBB14_49
; %bb.23:                               ;   in Loop: Header=BB14_16 Depth=1
	v_mul_lo_u32 v31, v29, s7
	v_mad_u32 v32, s23, v29, 1
	v_dual_mov_b32 v33, 0 :: v_dual_mov_b32 v34, v1
	s_mov_b32 s40, 0
	s_mov_b32 s41, s34
	s_branch .LBB14_26
.LBB14_24:                              ;   in Loop: Header=BB14_26 Depth=2
	s_or_b32 exec_lo, exec_lo, s43
	v_mov_b32_e32 v33, v35
.LBB14_25:                              ;   in Loop: Header=BB14_26 Depth=2
	s_or_b32 exec_lo, exec_lo, s42
	s_delay_alu instid0(VALU_DEP_1) | instskip(SKIP_3) | instid1(SALU_CYCLE_1)
	v_cmp_eq_u32_e32 vcc_lo, s7, v33
	v_dual_add_nc_u32 v32, s31, v32 :: v_dual_add_nc_u32 v34, 1, v34
	s_add_co_i32 s41, s41, -1
	s_or_b32 s40, vcc_lo, s40
	s_and_not1_b32 exec_lo, exec_lo, s40
	s_cbranch_execz .LBB14_48
.LBB14_26:                              ;   Parent Loop BB14_16 Depth=1
                                        ; =>  This Loop Header: Depth=2
                                        ;       Child Loop BB14_31 Depth 3
                                        ;         Child Loop BB14_40 Depth 4
	s_delay_alu instid0(VALU_DEP_1) | instskip(SKIP_1) | instid1(SALU_CYCLE_1)
	v_add_nc_u32_e32 v35, 1, v33
	s_and_saveexec_b32 s4, s1
	s_xor_b32 s4, exec_lo, s4
; %bb.27:                               ;   in Loop: Header=BB14_26 Depth=2
	v_add_nc_u32_e32 v33, 1, v33
                                        ; implicit-def: $vgpr35
; %bb.28:                               ;   in Loop: Header=BB14_26 Depth=2
	s_and_not1_saveexec_b32 s42, s4
	s_cbranch_execz .LBB14_25
; %bb.29:                               ;   in Loop: Header=BB14_26 Depth=2
	s_delay_alu instid0(VALU_DEP_1)
	v_add_nc_u32_e32 v8, v33, v31
	v_cmp_gt_i32_e64 s4, s7, v35
	v_mov_b32_e32 v38, v22
	s_mov_b32 s43, 0
	v_mov_b32_e32 v37, v34
	v_mad_u32 v8, v8, s7, v33
	global_load_b64 v[8:9], v8, s[12:13] scale_offset
	s_wait_loadcnt 0x0
	v_mul_f32_e32 v10, v9, v9
	s_delay_alu instid0(VALU_DEP_1) | instskip(NEXT) | instid1(VALU_DEP_1)
	v_fmac_f32_e32 v10, v8, v8
	v_div_scale_f32 v11, null, v10, v10, 1.0
	v_div_scale_f32 v14, vcc_lo, 1.0, v10, 1.0
	s_delay_alu instid0(VALU_DEP_2) | instskip(SKIP_1) | instid1(TRANS32_DEP_1)
	v_rcp_f32_e32 v12, v11
	v_nop
	v_fma_f32 v13, -v11, v12, 1.0
	s_delay_alu instid0(VALU_DEP_1) | instskip(NEXT) | instid1(VALU_DEP_1)
	v_fmac_f32_e32 v12, v13, v12
	v_mul_f32_e32 v13, v14, v12
	s_delay_alu instid0(VALU_DEP_1) | instskip(NEXT) | instid1(VALU_DEP_1)
	v_fma_f32 v15, -v11, v13, v14
	v_fmac_f32_e32 v13, v15, v12
	s_delay_alu instid0(VALU_DEP_1) | instskip(NEXT) | instid1(VALU_DEP_1)
	v_dual_fma_f32 v11, -v11, v13, v14 :: v_dual_add_nc_u32 v14, v33, v28
	v_div_fmas_f32 v11, v11, v12, v13
	s_delay_alu instid0(VALU_DEP_2) | instskip(SKIP_1) | instid1(VALU_DEP_3)
	v_mul_lo_u32 v36, v14, s7
	v_dual_mov_b32 v12, v8 :: v_dual_mov_b32 v13, v8
	v_div_fixup_f32 v10, v11, v10, 1.0
	s_wait_xcnt 0x0
	s_delay_alu instid0(VALU_DEP_1)
	v_dual_mov_b32 v8, v9 :: v_dual_mov_b32 v11, v10
	s_branch .LBB14_31
.LBB14_30:                              ;   in Loop: Header=BB14_31 Depth=3
	s_wait_xcnt 0x0
	s_or_b32 exec_lo, exec_lo, s44
	v_dual_add_nc_u32 v38, 64, v38 :: v_dual_add_nc_u32 v37, s33, v37
	s_delay_alu instid0(VALU_DEP_1) | instskip(SKIP_1) | instid1(SALU_CYCLE_1)
	v_cmp_le_i32_e32 vcc_lo, s7, v38
	s_or_b32 s43, vcc_lo, s43
	s_and_not1_b32 exec_lo, exec_lo, s43
	s_cbranch_execz .LBB14_24
.LBB14_31:                              ;   Parent Loop BB14_16 Depth=1
                                        ;     Parent Loop BB14_26 Depth=2
                                        ; =>    This Loop Header: Depth=3
                                        ;         Child Loop BB14_40 Depth 4
	s_delay_alu instid0(VALU_DEP_4)
	v_add_nc_u32_e32 v16, v38, v36
	s_and_b32 vcc_lo, exec_lo, s30
	s_cbranch_vccz .LBB14_46
; %bb.32:                               ;   in Loop: Header=BB14_31 Depth=3
	v_add_nc_u32_e32 v14, v38, v36
	v_add_nc_u32_e32 v15, v38, v28
	s_delay_alu instid0(VALU_DEP_1)
	v_mad_u32 v17, v15, s7, v33
	s_cbranch_execnz .LBB14_34
.LBB14_33:                              ;   in Loop: Header=BB14_31 Depth=3
	v_mad_u32 v14, v15, s7, v33
.LBB14_34:                              ;   in Loop: Header=BB14_31 Depth=3
	global_load_b64 v[14:15], v14, s[12:13] scale_offset
	s_and_b32 vcc_lo, exec_lo, s30
	s_cbranch_vccz .LBB14_47
; %bb.35:                               ;   in Loop: Header=BB14_31 Depth=3
	s_cbranch_execnz .LBB14_37
.LBB14_36:                              ;   in Loop: Header=BB14_31 Depth=3
	v_mov_b32_e32 v16, v17
.LBB14_37:                              ;   in Loop: Header=BB14_31 Depth=3
	s_wait_loadcnt 0x0
	v_pk_mul_f32 v[18:19], v[8:9], v[14:15] op_sel:[0,1] op_sel_hi:[1,0] neg_hi:[0,1]
	s_wait_xcnt 0x0
	s_delay_alu instid0(VALU_DEP_1) | instskip(NEXT) | instid1(VALU_DEP_1)
	v_pk_fma_f32 v[14:15], v[14:15], v[12:13], v[18:19]
	v_pk_mul_f32 v[14:15], v[10:11], v[14:15]
	global_store_b64 v16, v[14:15], s[12:13] scale_offset
	s_wait_xcnt 0x0
	s_and_saveexec_b32 s44, s4
	s_cbranch_execz .LBB14_30
; %bb.38:                               ;   in Loop: Header=BB14_31 Depth=3
	v_xor_b32_e32 v17, 0x80000000, v14
	v_dual_mov_b32 v16, v15 :: v_dual_mov_b32 v39, v37
	v_dual_mov_b32 v40, v32 :: v_dual_mov_b32 v41, v35
	s_mov_b32 s45, s41
	s_branch .LBB14_40
.LBB14_39:                              ;   in Loop: Header=BB14_40 Depth=4
	s_wait_loadcnt 0x0
	s_wait_xcnt 0x0
	v_pk_fma_f32 v[20:21], v[14:15], v[18:19], v[20:21] op_sel_hi:[1,0,1] neg_lo:[1,0,0] neg_hi:[1,0,0]
	v_dual_add_nc_u32 v41, 1, v41 :: v_dual_add_nc_u32 v40, 1, v40
	v_add_nc_u32_e32 v39, 1, v39
	s_add_co_i32 s45, s45, -1
	s_delay_alu instid0(VALU_DEP_3)
	v_pk_fma_f32 v[18:19], v[16:17], v[18:19], v[20:21] op_sel:[0,1,0]
	s_cmp_eq_u32 s45, 0
	global_store_b64 v43, v[18:19], s[12:13] scale_offset
	s_cbranch_scc1 .LBB14_30
.LBB14_40:                              ;   Parent Loop BB14_16 Depth=1
                                        ;     Parent Loop BB14_26 Depth=2
                                        ;       Parent Loop BB14_31 Depth=3
                                        ; =>      This Inner Loop Header: Depth=4
	s_wait_xcnt 0x0
	s_delay_alu instid0(VALU_DEP_1)
	v_mov_b32_e32 v18, v40
	s_and_not1_b32 vcc_lo, exec_lo, s30
	s_cbranch_vccnz .LBB14_42
; %bb.41:                               ;   in Loop: Header=BB14_40 Depth=4
	v_add_nc_u32_e32 v18, v41, v31
	s_delay_alu instid0(VALU_DEP_1)
	v_mad_u32 v18, v18, s7, v33
.LBB14_42:                              ;   in Loop: Header=BB14_40 Depth=4
	global_load_b64 v[18:19], v18, s[12:13] scale_offset
	v_dual_mov_b32 v21, v39 :: v_dual_add_nc_u32 v20, v41, v28
	s_and_not1_b32 vcc_lo, exec_lo, s30
	s_delay_alu instid0(VALU_DEP_1)
	v_mad_u32 v42, v20, s7, v38
	s_cbranch_vccnz .LBB14_44
; %bb.43:                               ;   in Loop: Header=BB14_40 Depth=4
	v_mad_u32 v21, v20, s7, v38
.LBB14_44:                              ;   in Loop: Header=BB14_40 Depth=4
	global_load_b64 v[20:21], v21, s[12:13] scale_offset
	v_mov_b32_e32 v43, v39
	s_and_not1_b32 vcc_lo, exec_lo, s30
	s_cbranch_vccnz .LBB14_39
; %bb.45:                               ;   in Loop: Header=BB14_40 Depth=4
	v_mov_b32_e32 v43, v42
	s_branch .LBB14_39
.LBB14_46:                              ;   in Loop: Header=BB14_31 Depth=3
                                        ; implicit-def: $vgpr14
	v_add_nc_u32_e32 v15, v38, v28
	s_delay_alu instid0(VALU_DEP_1)
	v_mad_u32 v17, v15, s7, v33
	s_branch .LBB14_33
.LBB14_47:                              ;   in Loop: Header=BB14_31 Depth=3
                                        ; implicit-def: $vgpr16
	s_branch .LBB14_36
.LBB14_48:                              ;   in Loop: Header=BB14_16 Depth=1
	s_or_b32 exec_lo, exec_lo, s40
.LBB14_49:                              ;   in Loop: Header=BB14_16 Depth=1
	v_subrev_nc_u32_e32 v12, s6, v30
	v_add_nc_u32_e32 v13, 1, v29
	s_mov_b32 s4, exec_lo
	s_delay_alu instid0(VALU_DEP_1)
	v_cmpx_lt_i32_e64 v13, v12
	s_cbranch_execz .LBB14_14
; %bb.50:                               ;   in Loop: Header=BB14_16 Depth=1
	v_mul_lo_u32 v14, s23, v13
	s_mov_b32 s40, 0
	s_branch .LBB14_53
.LBB14_51:                              ;   in Loop: Header=BB14_53 Depth=2
	s_or_b32 exec_lo, exec_lo, s41
.LBB14_52:                              ;   in Loop: Header=BB14_53 Depth=2
	v_dual_add_nc_u32 v13, 1, v13 :: v_dual_add_nc_u32 v14, s23, v14
	s_delay_alu instid0(VALU_DEP_1) | instskip(SKIP_1) | instid1(SALU_CYCLE_1)
	v_cmp_ge_i32_e32 vcc_lo, v13, v12
	s_or_b32 s40, vcc_lo, s40
	s_and_not1_b32 exec_lo, exec_lo, s40
	s_cbranch_execz .LBB14_14
.LBB14_53:                              ;   Parent Loop BB14_16 Depth=1
                                        ; =>  This Loop Header: Depth=2
                                        ;       Child Loop BB14_58 Depth 3
                                        ;       Child Loop BB14_65 Depth 3
                                        ;         Child Loop BB14_67 Depth 4
                                        ;           Child Loop BB14_69 Depth 5
	s_wait_dscnt 0x0
	global_load_b32 v8, v13, s[10:11] scale_offset
	v_mov_b32_e32 v9, s25
	s_wait_xcnt 0x0
	s_and_saveexec_b32 s41, s2
	s_cbranch_execz .LBB14_55
; %bb.54:                               ;   in Loop: Header=BB14_53 Depth=2
	global_load_b32 v9, v[6:7], off
	s_wait_loadcnt 0x0
	v_subrev_nc_u32_e32 v9, s6, v9
.LBB14_55:                              ;   in Loop: Header=BB14_53 Depth=2
	s_wait_xcnt 0x0
	s_or_b32 exec_lo, exec_lo, s41
	s_wait_loadcnt 0x0
	v_subrev_nc_u32_e32 v8, s6, v8
	v_mov_b32_e32 v10, v0
	s_mov_b32 s41, exec_lo
	s_delay_alu instid0(VALU_DEP_2)
	v_cmpx_lt_i32_e64 v9, v8
	s_cbranch_execz .LBB14_61
; %bb.56:                               ;   in Loop: Header=BB14_53 Depth=2
	v_mov_b32_e32 v11, v0
	s_mov_b32 s42, 0
	s_branch .LBB14_58
.LBB14_57:                              ;   in Loop: Header=BB14_58 Depth=3
	s_wait_xcnt 0x0
	s_or_b32 exec_lo, exec_lo, s43
	s_delay_alu instid0(VALU_DEP_1) | instskip(SKIP_2) | instid1(SALU_CYCLE_1)
	v_cmp_ge_i32_e32 vcc_lo, v9, v8
	v_mov_b32_e32 v11, v10
	s_or_b32 s42, vcc_lo, s42
	s_and_not1_b32 exec_lo, exec_lo, s42
	s_cbranch_execz .LBB14_60
.LBB14_58:                              ;   Parent Loop BB14_16 Depth=1
                                        ;     Parent Loop BB14_53 Depth=2
                                        ; =>    This Inner Loop Header: Depth=3
	s_delay_alu instid0(VALU_DEP_1) | instskip(SKIP_1) | instid1(VALU_DEP_1)
	v_dual_mov_b32 v9, s25 :: v_dual_add_nc_u32 v10, 64, v11
	s_mov_b32 s43, exec_lo
	v_cmpx_lt_i32_e64 v10, v23
	s_cbranch_execz .LBB14_57
; %bb.59:                               ;   in Loop: Header=BB14_58 Depth=3
	global_load_b32 v9, v11, s[10:11] offset:256 scale_offset
	s_wait_loadcnt 0x0
	v_subrev_nc_u32_e32 v9, s6, v9
	s_branch .LBB14_57
.LBB14_60:                              ;   in Loop: Header=BB14_53 Depth=2
	s_or_b32 exec_lo, exec_lo, s42
.LBB14_61:                              ;   in Loop: Header=BB14_53 Depth=2
	s_delay_alu instid0(SALU_CYCLE_1)
	s_or_b32 exec_lo, exec_lo, s41
	v_cmp_eq_u32_e32 vcc_lo, v9, v8
	s_cbranch_vccz .LBB14_52
; %bb.62:                               ;   in Loop: Header=BB14_53 Depth=2
	s_ctz_i32_b32 s41, vcc_lo
	s_delay_alu instid0(SALU_CYCLE_1) | instskip(NEXT) | instid1(SALU_CYCLE_1)
	s_lshl_b32 s41, s41, 2
	v_mov_b32_e32 v8, s41
	ds_bpermute_b32 v8, v8, v10
	s_and_saveexec_b32 s41, s0
	s_cbranch_execz .LBB14_51
; %bb.63:                               ;   in Loop: Header=BB14_53 Depth=2
	v_mul_lo_u32 v15, v13, s7
	s_wait_dscnt 0x0
	v_mul_lo_u32 v16, v8, s7
	v_dual_mov_b32 v17, v27 :: v_dual_mov_b32 v18, v22
	s_mov_b32 s42, 0
	s_branch .LBB14_65
.LBB14_64:                              ;   in Loop: Header=BB14_65 Depth=3
	v_dual_add_nc_u32 v18, 64, v18 :: v_dual_add_nc_u32 v17, s33, v17
	s_delay_alu instid0(VALU_DEP_1)
	v_cmp_le_i32_e32 vcc_lo, s7, v18
	s_or_b32 s42, vcc_lo, s42
	s_wait_xcnt 0x0
	s_and_not1_b32 exec_lo, exec_lo, s42
	s_cbranch_execz .LBB14_51
.LBB14_65:                              ;   Parent Loop BB14_16 Depth=1
                                        ;     Parent Loop BB14_53 Depth=2
                                        ; =>    This Loop Header: Depth=3
                                        ;         Child Loop BB14_67 Depth 4
                                        ;           Child Loop BB14_69 Depth 5
	s_delay_alu instid0(VALU_DEP_1) | instskip(SKIP_2) | instid1(VALU_DEP_2)
	v_add_nc_u32_e32 v8, v18, v16
	v_mov_b32_e32 v20, v14
	s_mov_b32 s43, 0
	v_mul_lo_u32 v19, v8, s7
	s_branch .LBB14_67
.LBB14_66:                              ;   in Loop: Header=BB14_67 Depth=4
	global_load_b64 v[30:31], v10, s[12:13] scale_offset
	v_add_nc_u32_e32 v20, 1, v20
	s_add_co_i32 s43, s43, 1
	s_delay_alu instid0(SALU_CYCLE_1)
	s_cmp_eq_u32 s43, s7
	s_wait_loadcnt 0x0
	v_pk_add_f32 v[8:9], v[30:31], v[8:9] neg_lo:[0,1] neg_hi:[0,1]
	global_store_b64 v10, v[8:9], s[12:13] scale_offset
	s_cbranch_scc1 .LBB14_64
.LBB14_67:                              ;   Parent Loop BB14_16 Depth=1
                                        ;     Parent Loop BB14_53 Depth=2
                                        ;       Parent Loop BB14_65 Depth=3
                                        ; =>      This Loop Header: Depth=4
                                        ;           Child Loop BB14_69 Depth 5
	s_wait_xcnt 0x0
	v_dual_mov_b32 v29, v20 :: v_dual_add_nc_u32 v8, s43, v15
	s_mov_b32 s44, 0
	s_delay_alu instid0(VALU_DEP_1) | instskip(SKIP_1) | instid1(VALU_DEP_1)
	v_mul_lo_u32 v21, v8, s7
	v_mov_b32_e32 v8, 0
	v_mov_b32_e32 v9, v8
	s_branch .LBB14_69
.LBB14_68:                              ;   in Loop: Header=BB14_69 Depth=5
	global_load_b64 v[30:31], v30, s[12:13] scale_offset
	v_add_nc_u32_e32 v29, s7, v29
	s_add_co_i32 s44, s44, 1
	s_delay_alu instid0(SALU_CYCLE_1) | instskip(SKIP_2) | instid1(VALU_DEP_1)
	s_cmp_eq_u32 s7, s44
	s_wait_loadcnt 0x0
	v_pk_fma_f32 v[8:9], v[10:11], v[30:31], v[8:9] op_sel_hi:[1,0,1]
	v_pk_fma_f32 v[8:9], v[10:11], v[30:31], v[8:9] op_sel:[1,1,0] op_sel_hi:[0,1,1] neg_lo:[1,0,0]
	s_cbranch_scc1 .LBB14_75
.LBB14_69:                              ;   Parent Loop BB14_16 Depth=1
                                        ;     Parent Loop BB14_53 Depth=2
                                        ;       Parent Loop BB14_65 Depth=3
                                        ;         Parent Loop BB14_67 Depth=4
                                        ; =>        This Inner Loop Header: Depth=5
	s_and_b32 vcc_lo, exec_lo, s30
	s_cbranch_vccz .LBB14_74
; %bb.70:                               ;   in Loop: Header=BB14_69 Depth=5
	s_wait_xcnt 0x1
	v_add_nc_u32_e32 v10, s44, v28
	s_delay_alu instid0(VALU_DEP_1)
	v_mad_u32 v10, v10, s7, v18
	s_cbranch_execnz .LBB14_72
.LBB14_71:                              ;   in Loop: Header=BB14_69 Depth=5
	s_wait_xcnt 0x1
	v_add_nc_u32_e32 v10, s44, v17
.LBB14_72:                              ;   in Loop: Header=BB14_69 Depth=5
	global_load_b64 v[10:11], v10, s[12:13] scale_offset
	s_wait_xcnt 0x1
	v_mov_b32_e32 v30, v29
	s_and_not1_b32 vcc_lo, exec_lo, s30
	s_cbranch_vccnz .LBB14_68
; %bb.73:                               ;   in Loop: Header=BB14_69 Depth=5
	v_add_nc_u32_e32 v30, s44, v21
	s_branch .LBB14_68
.LBB14_74:                              ;   in Loop: Header=BB14_69 Depth=5
                                        ; implicit-def: $vgpr10
	s_branch .LBB14_71
.LBB14_75:                              ;   in Loop: Header=BB14_67 Depth=4
	s_and_b32 vcc_lo, exec_lo, s30
	s_cbranch_vccz .LBB14_77
; %bb.76:                               ;   in Loop: Header=BB14_67 Depth=4
	s_wait_xcnt 0x1
	v_add_nc_u32_e32 v10, s43, v16
	s_delay_alu instid0(VALU_DEP_1)
	v_mad_u32 v10, v10, s7, v18
	s_cbranch_execnz .LBB14_66
	s_branch .LBB14_78
.LBB14_77:                              ;   in Loop: Header=BB14_67 Depth=4
                                        ; implicit-def: $vgpr10
.LBB14_78:                              ;   in Loop: Header=BB14_67 Depth=4
	s_wait_xcnt 0x1
	v_add_nc_u32_e32 v10, s43, v19
	s_branch .LBB14_66
.LBB14_79:
	s_or_b32 exec_lo, exec_lo, s35
	s_delay_alu instid0(SALU_CYCLE_1)
	s_and_b32 s2, s37, exec_lo
.LBB14_80:
	s_or_b32 exec_lo, exec_lo, s22
	global_load_b32 v0, v25, s[10:11] scale_offset
	s_wait_kmcnt 0x0
	s_cmp_gt_i32 s7, 0
	s_mov_b32 s8, 0
	s_cselect_b32 s3, -1, 0
	s_wait_loadcnt 0x0
	v_subrev_nc_u32_e32 v0, s6, v0
	s_delay_alu instid0(VALU_DEP_1)
	v_cmp_eq_u32_e32 vcc_lo, v0, v2
	s_and_b32 s0, s3, vcc_lo
	s_wait_xcnt 0x0
	s_and_saveexec_b32 s4, s0
	s_cbranch_execz .LBB14_120
; %bb.81:
	v_cvt_f64_f32_e32 v[0:1], s28
	v_mul_lo_u32 v18, v25, s7
	s_cmp_eq_u64 s[16:17], 8
	s_mul_i32 s0, s7, s7
	s_cselect_b32 vcc_lo, -1, 0
	s_cmp_lg_u32 s24, 0
	v_mad_u32 v19, v25, s0, 1
	s_cselect_b32 s9, -1, 0
	s_add_co_i32 s10, s7, 1
	v_cmp_eq_u32_e64 s0, 0, v22
	s_lshl_b32 s11, s7, 6
	s_add_co_i32 s14, s7, -1
	v_add_nc_u32_e32 v6, v18, v22
	s_mov_b32 s16, s2
                                        ; implicit-def: $sgpr15
	s_wait_dscnt 0x0
	v_dual_mov_b32 v21, 0 :: v_dual_cndmask_b32 v0, v0, v4
	v_cndmask_b32_e32 v1, v1, v5, vcc_lo
	v_mad_u32 v20, s7, v6, s10
	s_branch .LBB14_83
.LBB14_82:                              ;   in Loop: Header=BB14_83 Depth=1
	s_or_b32 exec_lo, exec_lo, s1
	s_delay_alu instid0(VALU_DEP_1)
	v_cmp_eq_u32_e32 vcc_lo, s7, v27
	s_add_co_i32 s14, s14, -1
	v_dual_add_nc_u32 v19, s10, v19 :: v_dual_add_nc_u32 v20, s10, v20
	v_mov_b32_e32 v21, v27
	s_or_b32 s8, vcc_lo, s8
	s_and_not1_b32 s1, s15, exec_lo
	s_and_b32 s15, s16, exec_lo
	s_delay_alu instid0(SALU_CYCLE_1)
	s_or_b32 s15, s1, s15
	s_and_not1_b32 exec_lo, exec_lo, s8
	s_cbranch_execz .LBB14_119
.LBB14_83:                              ; =>This Loop Header: Depth=1
                                        ;     Child Loop BB14_99 Depth 2
                                        ;       Child Loop BB14_108 Depth 3
	s_delay_alu instid0(VALU_DEP_3)
	v_add_nc_u32_e32 v4, v21, v18
	v_cmp_ne_u32_e32 vcc_lo, 1, v24
	s_mov_b32 s17, 0
	s_mov_b32 s1, 0
	s_mov_b32 s22, -1
	v_mul_lo_u32 v26, v4, s7
	s_and_b32 vcc_lo, exec_lo, vcc_lo
                                        ; implicit-def: $vgpr4_vgpr5
	s_delay_alu instid0(VALU_DEP_1)
	v_add_nc_u32_e32 v8, v26, v21
	s_wait_loadcnt 0x0
	global_load_b64 v[6:7], v8, s[12:13] scale_offset
	s_cbranch_vccz .LBB14_86
; %bb.84:                               ;   in Loop: Header=BB14_83 Depth=1
	s_and_b32 vcc_lo, exec_lo, s22
	s_cbranch_vccnz .LBB14_95
.LBB14_85:                              ;   in Loop: Header=BB14_83 Depth=1
                                        ; implicit-def: $vgpr27
	s_wait_xcnt 0x0
	s_and_saveexec_b32 s22, s1
	s_delay_alu instid0(SALU_CYCLE_1)
	s_xor_b32 s22, exec_lo, s22
	s_cbranch_execnz .LBB14_96
	s_branch .LBB14_117
.LBB14_86:                              ;   in Loop: Header=BB14_83 Depth=1
	s_wait_loadcnt 0x0
	v_cmp_gt_f32_e32 vcc_lo, 0, v6
                                        ; implicit-def: $vgpr9
	s_mov_b32 s1, exec_lo
	v_cndmask_b32_e64 v4, v6, -v6, vcc_lo
	v_cmp_gt_f32_e32 vcc_lo, 0, v7
	v_cndmask_b32_e64 v5, v7, -v7, vcc_lo
	s_wait_xcnt 0x0
	s_delay_alu instid0(VALU_DEP_1)
	v_cmpx_ngt_f32_e32 v4, v5
	s_xor_b32 s22, exec_lo, s1
	s_cbranch_execz .LBB14_90
; %bb.87:                               ;   in Loop: Header=BB14_83 Depth=1
	v_mov_b32_e32 v9, 0
	s_mov_b32 s23, exec_lo
	v_cmpx_neq_f32_e32 0, v7
	s_cbranch_execz .LBB14_89
; %bb.88:                               ;   in Loop: Header=BB14_83 Depth=1
	v_div_scale_f32 v9, null, v5, v5, v4
	v_div_scale_f32 v12, vcc_lo, v4, v5, v4
	s_delay_alu instid0(VALU_DEP_2) | instskip(SKIP_1) | instid1(TRANS32_DEP_1)
	v_rcp_f32_e32 v10, v9
	v_nop
	v_fma_f32 v11, -v9, v10, 1.0
	s_delay_alu instid0(VALU_DEP_1) | instskip(NEXT) | instid1(VALU_DEP_1)
	v_fmac_f32_e32 v10, v11, v10
	v_mul_f32_e32 v11, v12, v10
	s_delay_alu instid0(VALU_DEP_1) | instskip(NEXT) | instid1(VALU_DEP_1)
	v_fma_f32 v13, -v9, v11, v12
	v_fmac_f32_e32 v11, v13, v10
	s_delay_alu instid0(VALU_DEP_1) | instskip(NEXT) | instid1(VALU_DEP_1)
	v_fma_f32 v9, -v9, v11, v12
	v_div_fmas_f32 v9, v9, v10, v11
	s_delay_alu instid0(VALU_DEP_1) | instskip(NEXT) | instid1(VALU_DEP_1)
	v_div_fixup_f32 v4, v9, v5, v4
	v_fma_f32 v4, v4, v4, 1.0
	s_delay_alu instid0(VALU_DEP_1) | instskip(SKIP_1) | instid1(VALU_DEP_2)
	v_mul_f32_e32 v9, 0x4f800000, v4
	v_cmp_gt_f32_e32 vcc_lo, 0xf800000, v4
	v_cndmask_b32_e32 v4, v4, v9, vcc_lo
	s_delay_alu instid0(VALU_DEP_1) | instskip(SKIP_1) | instid1(TRANS32_DEP_1)
	v_sqrt_f32_e32 v9, v4
	v_nop
	v_dual_add_nc_u32 v10, -1, v9 :: v_dual_add_nc_u32 v11, 1, v9
	s_delay_alu instid0(VALU_DEP_1) | instskip(NEXT) | instid1(VALU_DEP_1)
	v_fma_f32 v12, -v10, v9, v4
	v_cmp_ge_f32_e64 s1, 0, v12
	s_delay_alu instid0(VALU_DEP_1) | instskip(NEXT) | instid1(VALU_DEP_1)
	v_dual_fma_f32 v13, -v11, v9, v4 :: v_dual_cndmask_b32 v9, v9, v10, s1
	v_cmp_lt_f32_e64 s1, 0, v13
	s_delay_alu instid0(VALU_DEP_1) | instskip(NEXT) | instid1(VALU_DEP_1)
	v_cndmask_b32_e64 v9, v9, v11, s1
	v_mul_f32_e32 v10, 0x37800000, v9
	s_delay_alu instid0(VALU_DEP_1) | instskip(SKIP_1) | instid1(VALU_DEP_2)
	v_cndmask_b32_e32 v9, v9, v10, vcc_lo
	v_cmp_class_f32_e64 vcc_lo, v4, 0x260
	v_cndmask_b32_e32 v4, v9, v4, vcc_lo
	s_delay_alu instid0(VALU_DEP_1)
	v_mul_f32_e32 v9, v5, v4
.LBB14_89:                              ;   in Loop: Header=BB14_83 Depth=1
	s_or_b32 exec_lo, exec_lo, s23
                                        ; implicit-def: $vgpr4
                                        ; implicit-def: $vgpr5
.LBB14_90:                              ;   in Loop: Header=BB14_83 Depth=1
	s_and_not1_saveexec_b32 s22, s22
	s_cbranch_execz .LBB14_92
; %bb.91:                               ;   in Loop: Header=BB14_83 Depth=1
	v_div_scale_f32 v9, null, v4, v4, v5
	v_div_scale_f32 v12, vcc_lo, v5, v4, v5
	s_delay_alu instid0(VALU_DEP_2) | instskip(SKIP_1) | instid1(TRANS32_DEP_1)
	v_rcp_f32_e32 v10, v9
	v_nop
	v_fma_f32 v11, -v9, v10, 1.0
	s_delay_alu instid0(VALU_DEP_1) | instskip(NEXT) | instid1(VALU_DEP_1)
	v_fmac_f32_e32 v10, v11, v10
	v_mul_f32_e32 v11, v12, v10
	s_delay_alu instid0(VALU_DEP_1) | instskip(NEXT) | instid1(VALU_DEP_1)
	v_fma_f32 v13, -v9, v11, v12
	v_fmac_f32_e32 v11, v13, v10
	s_delay_alu instid0(VALU_DEP_1) | instskip(NEXT) | instid1(VALU_DEP_1)
	v_fma_f32 v9, -v9, v11, v12
	v_div_fmas_f32 v9, v9, v10, v11
	s_delay_alu instid0(VALU_DEP_1) | instskip(NEXT) | instid1(VALU_DEP_1)
	v_div_fixup_f32 v5, v9, v4, v5
	v_fma_f32 v5, v5, v5, 1.0
	s_delay_alu instid0(VALU_DEP_1) | instskip(SKIP_1) | instid1(VALU_DEP_2)
	v_mul_f32_e32 v9, 0x4f800000, v5
	v_cmp_gt_f32_e32 vcc_lo, 0xf800000, v5
	v_cndmask_b32_e32 v5, v5, v9, vcc_lo
	s_delay_alu instid0(VALU_DEP_1) | instskip(SKIP_1) | instid1(TRANS32_DEP_1)
	v_sqrt_f32_e32 v9, v5
	v_nop
	v_dual_add_nc_u32 v10, -1, v9 :: v_dual_add_nc_u32 v11, 1, v9
	s_delay_alu instid0(VALU_DEP_1) | instskip(NEXT) | instid1(VALU_DEP_1)
	v_fma_f32 v12, -v10, v9, v5
	v_cmp_ge_f32_e64 s1, 0, v12
	s_delay_alu instid0(VALU_DEP_1) | instskip(NEXT) | instid1(VALU_DEP_1)
	v_dual_fma_f32 v13, -v11, v9, v5 :: v_dual_cndmask_b32 v9, v9, v10, s1
	v_cmp_lt_f32_e64 s1, 0, v13
	s_delay_alu instid0(VALU_DEP_1) | instskip(NEXT) | instid1(VALU_DEP_1)
	v_cndmask_b32_e64 v9, v9, v11, s1
	v_mul_f32_e32 v10, 0x37800000, v9
	s_delay_alu instid0(VALU_DEP_1) | instskip(SKIP_1) | instid1(VALU_DEP_2)
	v_cndmask_b32_e32 v9, v9, v10, vcc_lo
	v_cmp_class_f32_e64 vcc_lo, v5, 0x260
	v_cndmask_b32_e32 v5, v9, v5, vcc_lo
	s_delay_alu instid0(VALU_DEP_1)
	v_mul_f32_e32 v9, v4, v5
.LBB14_92:                              ;   in Loop: Header=BB14_83 Depth=1
	s_or_b32 exec_lo, exec_lo, s22
	s_delay_alu instid0(VALU_DEP_1) | instskip(NEXT) | instid1(VALU_DEP_1)
	v_cvt_f64_f32_e32 v[4:5], v9
	v_cmp_ge_f64_e32 vcc_lo, v[0:1], v[4:5]
	v_cndmask_b32_e64 v4, v7, s27, vcc_lo
	v_cndmask_b32_e64 v5, v6, s26, vcc_lo
	s_and_saveexec_b32 s1, s0
	s_cbranch_execz .LBB14_94
; %bb.93:                               ;   in Loop: Header=BB14_83 Depth=1
	s_delay_alu instid0(VALU_DEP_1) | instskip(SKIP_1) | instid1(VALU_DEP_2)
	v_dual_mov_b32 v10, v5 :: v_dual_ashrrev_i32 v9, 31, v8
	v_mov_b32_e32 v11, v4
	v_lshl_add_u64 v[8:9], v[8:9], 3, s[12:13]
	global_store_b64 v[8:9], v[10:11], off
.LBB14_94:                              ;   in Loop: Header=BB14_83 Depth=1
	s_wait_xcnt 0x0
	s_or_b32 exec_lo, exec_lo, s1
	s_mov_b32 s1, -1
	s_branch .LBB14_85
.LBB14_95:                              ;   in Loop: Header=BB14_83 Depth=1
	s_wait_loadcnt 0x0
	v_bitop3_b32 v4, v6, 0x7fffffff, v7 bitop3:0xc8
	s_and_not1_b32 s1, s1, exec_lo
	s_mov_b32 s17, -1
	v_mov_b32_e32 v5, v6
	s_delay_alu instid0(VALU_DEP_2) | instskip(SKIP_2) | instid1(SALU_CYCLE_1)
	v_cmp_ne_u32_e32 vcc_lo, 0, v4
	v_mov_b32_e32 v4, v7
	s_and_b32 s22, vcc_lo, exec_lo
	s_or_b32 s1, s1, s22
                                        ; implicit-def: $vgpr27
	s_wait_xcnt 0x0
	s_and_saveexec_b32 s22, s1
	s_delay_alu instid0(SALU_CYCLE_1)
	s_xor_b32 s22, exec_lo, s22
	s_cbranch_execz .LBB14_117
.LBB14_96:                              ;   in Loop: Header=BB14_83 Depth=1
	v_add_nc_u32_e32 v27, 1, v21
	s_mov_b32 s23, exec_lo
	s_delay_alu instid0(VALU_DEP_1) | instskip(NEXT) | instid1(VALU_DEP_1)
	v_add_nc_u32_e32 v28, v27, v22
	v_cmpx_gt_i32_e64 s7, v28
	s_cbranch_execz .LBB14_116
; %bb.97:                               ;   in Loop: Header=BB14_83 Depth=1
	s_wait_loadcnt 0x0
	v_mul_f32_e32 v6, v4, v4
	v_cmp_gt_i32_e64 s1, s7, v27
	s_mov_b32 s25, 0
	v_dual_mov_b32 v29, v20 :: v_dual_fmac_f32 v6, v5, v5
	s_delay_alu instid0(VALU_DEP_1) | instskip(SKIP_1) | instid1(VALU_DEP_2)
	v_div_scale_f32 v7, null, v6, v6, 1.0
	v_div_scale_f32 v10, vcc_lo, 1.0, v6, 1.0
	v_rcp_f32_e32 v8, v7
	v_nop
	s_delay_alu instid0(TRANS32_DEP_1) | instskip(NEXT) | instid1(VALU_DEP_1)
	v_fma_f32 v9, -v7, v8, 1.0
	v_fmac_f32_e32 v8, v9, v8
	s_delay_alu instid0(VALU_DEP_1) | instskip(NEXT) | instid1(VALU_DEP_1)
	v_mul_f32_e32 v9, v10, v8
	v_fma_f32 v11, -v7, v9, v10
	s_delay_alu instid0(VALU_DEP_1) | instskip(NEXT) | instid1(VALU_DEP_1)
	v_fmac_f32_e32 v9, v11, v8
	v_fma_f32 v7, -v7, v9, v10
	s_delay_alu instid0(VALU_DEP_1) | instskip(SKIP_2) | instid1(VALU_DEP_3)
	v_div_fmas_f32 v7, v7, v8, v9
	v_dual_mov_b32 v8, v4 :: v_dual_mov_b32 v9, v4
	v_mov_b32_e32 v4, v5
	v_div_fixup_f32 v6, v7, v6, 1.0
	s_delay_alu instid0(VALU_DEP_1)
	v_mov_b32_e32 v7, v6
	s_branch .LBB14_99
.LBB14_98:                              ;   in Loop: Header=BB14_99 Depth=2
	s_wait_xcnt 0x0
	s_or_b32 exec_lo, exec_lo, s28
	v_dual_add_nc_u32 v28, 64, v28 :: v_dual_add_nc_u32 v29, s11, v29
	s_delay_alu instid0(VALU_DEP_1) | instskip(SKIP_1) | instid1(SALU_CYCLE_1)
	v_cmp_le_i32_e32 vcc_lo, s7, v28
	s_or_b32 s25, vcc_lo, s25
	s_and_not1_b32 exec_lo, exec_lo, s25
	s_cbranch_execz .LBB14_116
.LBB14_99:                              ;   Parent Loop BB14_83 Depth=1
                                        ; =>  This Loop Header: Depth=2
                                        ;       Child Loop BB14_108 Depth 3
	v_add_nc_u32_e32 v12, v28, v26
	s_and_b32 vcc_lo, exec_lo, s9
	s_cbranch_vccz .LBB14_114
; %bb.100:                              ;   in Loop: Header=BB14_99 Depth=2
	v_add_nc_u32_e32 v10, v28, v26
	s_cbranch_execnz .LBB14_102
.LBB14_101:                             ;   in Loop: Header=BB14_99 Depth=2
	v_add_nc_u32_e32 v10, v28, v18
	s_delay_alu instid0(VALU_DEP_1)
	v_mad_u32 v10, v10, s7, v21
.LBB14_102:                             ;   in Loop: Header=BB14_99 Depth=2
	global_load_b64 v[10:11], v10, s[12:13] scale_offset
	s_and_b32 vcc_lo, exec_lo, s9
	s_cbranch_vccz .LBB14_115
; %bb.103:                              ;   in Loop: Header=BB14_99 Depth=2
	s_cbranch_execnz .LBB14_105
.LBB14_104:                             ;   in Loop: Header=BB14_99 Depth=2
	v_add_nc_u32_e32 v12, v28, v18
	s_delay_alu instid0(VALU_DEP_1)
	v_mad_u32 v12, v12, s7, v21
.LBB14_105:                             ;   in Loop: Header=BB14_99 Depth=2
	s_wait_loadcnt 0x0
	v_pk_mul_f32 v[14:15], v[8:9], v[10:11] op_sel:[0,1] op_sel_hi:[1,0] neg_hi:[0,1]
	s_wait_xcnt 0x0
	s_delay_alu instid0(VALU_DEP_1) | instskip(NEXT) | instid1(VALU_DEP_1)
	v_pk_fma_f32 v[10:11], v[10:11], v[4:5], v[14:15]
	v_pk_mul_f32 v[10:11], v[6:7], v[10:11]
	global_store_b64 v12, v[10:11], s[12:13] scale_offset
	s_wait_xcnt 0x0
	s_and_saveexec_b32 s28, s1
	s_cbranch_execz .LBB14_98
; %bb.106:                              ;   in Loop: Header=BB14_99 Depth=2
	v_xor_b32_e32 v13, 0x80000000, v10
	v_dual_mov_b32 v12, v11 :: v_dual_mov_b32 v30, v29
	v_dual_mov_b32 v31, v19 :: v_dual_mov_b32 v32, v27
	s_mov_b32 s29, s14
	s_branch .LBB14_108
.LBB14_107:                             ;   in Loop: Header=BB14_108 Depth=3
	s_wait_loadcnt 0x0
	v_pk_fma_f32 v[16:17], v[10:11], v[14:15], v[16:17] op_sel_hi:[1,0,1] neg_lo:[1,0,0] neg_hi:[1,0,0]
	v_dual_add_nc_u32 v32, 1, v32 :: v_dual_add_nc_u32 v31, 1, v31
	v_add_nc_u32_e32 v30, 1, v30
	s_add_co_i32 s29, s29, -1
	s_delay_alu instid0(VALU_DEP_3)
	v_pk_fma_f32 v[14:15], v[12:13], v[14:15], v[16:17] op_sel:[0,1,0]
	s_cmp_eq_u32 s29, 0
	global_store_b64 v34, v[14:15], s[12:13] scale_offset
	s_cbranch_scc1 .LBB14_98
.LBB14_108:                             ;   Parent Loop BB14_83 Depth=1
                                        ;     Parent Loop BB14_99 Depth=2
                                        ; =>    This Inner Loop Header: Depth=3
	s_wait_xcnt 0x0
	s_delay_alu instid0(VALU_DEP_1)
	v_dual_add_nc_u32 v16, v32, v18 :: v_dual_mov_b32 v14, v31
	s_and_not1_b32 vcc_lo, exec_lo, s9
	s_cbranch_vccnz .LBB14_110
; %bb.109:                              ;   in Loop: Header=BB14_108 Depth=3
	s_delay_alu instid0(VALU_DEP_1)
	v_mad_u32 v14, v16, s7, v21
.LBB14_110:                             ;   in Loop: Header=BB14_108 Depth=3
	global_load_b64 v[14:15], v14, s[12:13] scale_offset
	v_mad_u32 v33, v16, s7, v28
	v_mov_b32_e32 v17, v30
	s_and_not1_b32 vcc_lo, exec_lo, s9
	s_cbranch_vccnz .LBB14_112
; %bb.111:                              ;   in Loop: Header=BB14_108 Depth=3
	v_mad_u32 v17, v16, s7, v28
.LBB14_112:                             ;   in Loop: Header=BB14_108 Depth=3
	global_load_b64 v[16:17], v17, s[12:13] scale_offset
	v_mov_b32_e32 v34, v30
	s_and_not1_b32 vcc_lo, exec_lo, s9
	s_cbranch_vccnz .LBB14_107
; %bb.113:                              ;   in Loop: Header=BB14_108 Depth=3
	v_mov_b32_e32 v34, v33
	s_branch .LBB14_107
.LBB14_114:                             ;   in Loop: Header=BB14_99 Depth=2
                                        ; implicit-def: $vgpr10
	s_branch .LBB14_101
.LBB14_115:                             ;   in Loop: Header=BB14_99 Depth=2
                                        ; implicit-def: $vgpr12
	s_branch .LBB14_104
.LBB14_116:                             ;   in Loop: Header=BB14_83 Depth=1
	s_or_b32 exec_lo, exec_lo, s23
	s_delay_alu instid0(SALU_CYCLE_1)
	s_and_not1_b32 s17, s17, exec_lo
.LBB14_117:                             ;   in Loop: Header=BB14_83 Depth=1
	s_or_b32 exec_lo, exec_lo, s22
	s_delay_alu instid0(SALU_CYCLE_1) | instskip(SKIP_1) | instid1(SALU_CYCLE_1)
	s_and_not1_b32 s1, s16, exec_lo
	s_and_b32 s16, s16, exec_lo
	s_or_b32 s16, s1, s16
	s_and_saveexec_b32 s1, s17
	s_cbranch_execz .LBB14_82
; %bb.118:                              ;   in Loop: Header=BB14_83 Depth=1
	v_add_nc_u32_e32 v27, 1, v21
	s_or_b32 s16, s16, exec_lo
	s_branch .LBB14_82
.LBB14_119:
	s_or_b32 exec_lo, exec_lo, s8
	s_delay_alu instid0(SALU_CYCLE_1) | instskip(SKIP_1) | instid1(SALU_CYCLE_1)
	s_and_not1_b32 s0, s2, exec_lo
	s_and_b32 s1, s15, exec_lo
	s_or_b32 s2, s0, s1
.LBB14_120:
	s_or_b32 exec_lo, exec_lo, s4
	s_wait_dscnt 0x0
	v_add_nc_u32_e32 v8, 1, v25
	s_mov_b32 s1, exec_lo
	s_delay_alu instid0(VALU_DEP_1)
	v_cmpx_lt_i32_e64 v8, v23
	s_cbranch_execz .LBB14_144
; %bb.121:
	v_mul_lo_u32 v9, v25, s7
	s_mul_i32 s4, s7, s7
	v_cmp_gt_i32_e64 s0, s7, v22
	v_mul_lo_u32 v0, s4, v8
	s_cmp_lg_u32 s24, 0
	s_mov_b32 s8, 0
	s_cselect_b32 s9, -1, 0
	s_add_co_i32 s10, s7, 1
	s_add_co_i32 s11, s7, -1
	v_mad_u32 v10, s7, v9, s7
	s_delay_alu instid0(VALU_DEP_2)
	v_add3_u32 v11, v0, s7, v22
	s_branch .LBB14_123
.LBB14_122:                             ;   in Loop: Header=BB14_123 Depth=1
	s_delay_alu instid0(VALU_DEP_1) | instskip(NEXT) | instid1(VALU_DEP_1)
	v_dual_add_nc_u32 v8, 1, v8 :: v_dual_add_nc_u32 v11, s4, v11
	v_cmp_ge_i32_e32 vcc_lo, v8, v23
	s_or_b32 s8, vcc_lo, s8
	s_delay_alu instid0(SALU_CYCLE_1)
	s_and_not1_b32 exec_lo, exec_lo, s8
	s_cbranch_execz .LBB14_144
.LBB14_123:                             ; =>This Loop Header: Depth=1
                                        ;     Child Loop BB14_126 Depth 2
                                        ;       Child Loop BB14_129 Depth 3
                                        ;         Child Loop BB14_132 Depth 4
	s_and_not1_b32 vcc_lo, exec_lo, s3
	s_cbranch_vccnz .LBB14_122
; %bb.124:                              ;   in Loop: Header=BB14_123 Depth=1
	v_mul_lo_u32 v12, v8, s7
	s_delay_alu instid0(VALU_DEP_3)
	v_dual_mov_b32 v13, v11 :: v_dual_mov_b32 v14, v10
	s_mov_b32 s15, 0
	s_mov_b32 s14, s11
	s_branch .LBB14_126
.LBB14_125:                             ;   in Loop: Header=BB14_126 Depth=2
	s_or_b32 exec_lo, exec_lo, s17
	v_dual_add_nc_u32 v14, s10, v14 :: v_dual_add_nc_u32 v13, s7, v13
	s_add_co_i32 s14, s14, -1
	s_cmp_eq_u32 s16, s7
	s_mov_b32 s15, s16
	s_cbranch_scc1 .LBB14_122
.LBB14_126:                             ;   Parent Loop BB14_123 Depth=1
                                        ; =>  This Loop Header: Depth=2
                                        ;       Child Loop BB14_129 Depth 3
                                        ;         Child Loop BB14_132 Depth 4
	s_add_co_i32 s16, s15, 1
	s_and_saveexec_b32 s17, s0
	s_cbranch_execz .LBB14_125
; %bb.127:                              ;   in Loop: Header=BB14_126 Depth=2
	s_delay_alu instid0(VALU_DEP_2) | instskip(SKIP_2) | instid1(VALU_DEP_2)
	v_dual_add_nc_u32 v0, s15, v9 :: v_dual_add_nc_u32 v1, s15, v12
	v_dual_mov_b32 v17, v13 :: v_dual_mov_b32 v18, v22
	s_cmp_lt_i32 s16, s7
	v_mul_lo_u32 v15, v0, s7
	s_delay_alu instid0(VALU_DEP_3)
	v_mul_lo_u32 v16, v1, s7
	s_cselect_b32 s22, -1, 0
	s_mov_b32 s23, 0
	s_branch .LBB14_129
.LBB14_128:                             ;   in Loop: Header=BB14_129 Depth=3
	v_dual_add_nc_u32 v18, 64, v18 :: v_dual_add_nc_u32 v17, 64, v17
	s_delay_alu instid0(VALU_DEP_1)
	v_cmp_le_i32_e32 vcc_lo, s7, v18
	s_or_b32 s23, vcc_lo, s23
	s_wait_xcnt 0x0
	s_and_not1_b32 exec_lo, exec_lo, s23
	s_cbranch_execz .LBB14_125
.LBB14_129:                             ;   Parent Loop BB14_123 Depth=1
                                        ;     Parent Loop BB14_126 Depth=2
                                        ; =>    This Loop Header: Depth=3
                                        ;         Child Loop BB14_132 Depth 4
	s_and_not1_b32 vcc_lo, exec_lo, s22
	s_cbranch_vccnz .LBB14_128
; %bb.130:                              ;   in Loop: Header=BB14_129 Depth=3
	v_add_nc_u32_e32 v0, v18, v12
	s_delay_alu instid0(VALU_DEP_2) | instskip(SKIP_4) | instid1(VALU_DEP_1)
	v_add_nc_u32_e32 v21, v18, v16
	s_mov_b32 s24, 0
	s_mov_b32 s25, s14
	;; [unrolled: 1-line block ×3, first 2 shown]
	v_mul_lo_u32 v19, v0, s7
	v_add_nc_u32_e32 v20, s15, v19
	s_branch .LBB14_132
.LBB14_131:                             ;   in Loop: Header=BB14_132 Depth=4
	s_wait_loadcnt 0x0
	v_pk_fma_f32 v[6:7], v[0:1], v[4:5], v[6:7] op_sel_hi:[1,0,1] neg_lo:[1,0,0] neg_hi:[1,0,0]
	s_add_co_i32 s25, s25, -1
	s_add_co_i32 s26, s26, 1
	s_add_co_i32 s24, s24, s7
	s_cmp_eq_u32 s25, 0
	v_pk_fma_f32 v[0:1], v[0:1], v[4:5], v[6:7] op_sel:[1,1,0] op_sel_hi:[0,1,1] neg_hi:[1,0,0]
	global_store_b64 v24, v[0:1], s[12:13] scale_offset
	s_cbranch_scc1 .LBB14_128
.LBB14_132:                             ;   Parent Loop BB14_123 Depth=1
                                        ;     Parent Loop BB14_126 Depth=2
                                        ;       Parent Loop BB14_129 Depth=3
                                        ; =>      This Inner Loop Header: Depth=4
	s_and_b32 vcc_lo, exec_lo, s9
	s_cbranch_vccz .LBB14_140
; %bb.133:                              ;   in Loop: Header=BB14_132 Depth=4
	s_wait_loadcnt 0x0
	v_add_nc_u32_e32 v6, s26, v15
	v_mov_b32_e32 v7, v20
	s_cbranch_execnz .LBB14_135
.LBB14_134:                             ;   in Loop: Header=BB14_132 Depth=4
	v_dual_mov_b32 v7, v21 :: v_dual_add_nc_u32 v6, s24, v14
.LBB14_135:                             ;   in Loop: Header=BB14_132 Depth=4
	s_clause 0x1
	global_load_b64 v[0:1], v6, s[12:13] scale_offset
	global_load_b64 v[4:5], v7, s[12:13] scale_offset
	v_add_nc_u32_e32 v24, s26, v19
	s_and_b32 vcc_lo, exec_lo, s9
	s_cbranch_vccz .LBB14_141
; %bb.136:                              ;   in Loop: Header=BB14_132 Depth=4
	s_wait_xcnt 0x1
	v_add_nc_u32_e32 v6, s26, v19
	v_add_nc_u32_e32 v25, s24, v17
	s_cbranch_execnz .LBB14_138
.LBB14_137:                             ;   in Loop: Header=BB14_132 Depth=4
	s_wait_xcnt 0x1
	v_add_nc_u32_e32 v6, s24, v17
.LBB14_138:                             ;   in Loop: Header=BB14_132 Depth=4
	global_load_b64 v[6:7], v6, s[12:13] scale_offset
	s_and_b32 vcc_lo, exec_lo, s9
	s_cbranch_vccz .LBB14_142
; %bb.139:                              ;   in Loop: Header=BB14_132 Depth=4
	s_cbranch_execnz .LBB14_131
	s_branch .LBB14_143
.LBB14_140:                             ;   in Loop: Header=BB14_132 Depth=4
                                        ; implicit-def: $vgpr6
	s_wait_loadcnt 0x0
	v_mov_b32_e32 v7, v20
	s_branch .LBB14_134
.LBB14_141:                             ;   in Loop: Header=BB14_132 Depth=4
                                        ; implicit-def: $vgpr6
	v_add_nc_u32_e32 v25, s24, v17
	s_branch .LBB14_137
.LBB14_142:                             ;   in Loop: Header=BB14_132 Depth=4
                                        ; implicit-def: $vgpr24
.LBB14_143:                             ;   in Loop: Header=BB14_132 Depth=4
	v_mov_b32_e32 v24, v25
	s_branch .LBB14_131
.LBB14_144:
	s_or_b32 exec_lo, exec_lo, s1
	s_delay_alu instid0(SALU_CYCLE_1)
	s_or_not1_b32 s2, s2, exec_lo
.LBB14_145:
	s_or_b32 exec_lo, exec_lo, s5
	v_cmp_eq_u32_e32 vcc_lo, 0, v22
	s_and_b32 exec_lo, exec_lo, vcc_lo
	s_cbranch_execz .LBB14_151
; %bb.146:
	v_lshl_add_u64 v[0:1], v[2:3], 2, s[20:21]
	v_mov_b32_e32 v3, 1
	global_wb scope:SCOPE_DEV
	s_wait_storecnt 0x0
	s_wait_loadcnt_dscnt 0x0
	global_store_b32 v[0:1], v3, off scope:SCOPE_DEV
	s_wait_xcnt 0x0
	s_and_b32 exec_lo, exec_lo, s2
	s_cbranch_execz .LBB14_151
; %bb.147:
	v_add_nc_u32_e32 v0, s6, v2
	s_mov_b32 s1, exec_lo
	s_brev_b32 s0, -2
.LBB14_148:                             ; =>This Inner Loop Header: Depth=1
	s_ctz_i32_b32 s2, s1
	s_delay_alu instid0(VALU_DEP_1) | instid1(SALU_CYCLE_1)
	v_readlane_b32 s3, v0, s2
	s_lshl_b32 s2, 1, s2
	s_delay_alu instid0(SALU_CYCLE_1)
	s_and_not1_b32 s1, s1, s2
	s_min_i32 s0, s0, s3
	s_cmp_lg_u32 s1, 0
	s_cbranch_scc1 .LBB14_148
; %bb.149:
	v_mbcnt_lo_u32_b32 v0, exec_lo, 0
	s_mov_b32 s1, exec_lo
	s_delay_alu instid0(VALU_DEP_1)
	v_cmpx_eq_u32_e32 0, v0
	s_xor_b32 s1, exec_lo, s1
	s_cbranch_execz .LBB14_151
; %bb.150:
	v_dual_mov_b32 v0, 0 :: v_dual_mov_b32 v1, s0
	global_atomic_min_i32 v0, v1, s[18:19] scope:SCOPE_DEV
.LBB14_151:
	s_endpgm
	.section	.rodata,"a",@progbits
	.p2align	6, 0x0
	.amdhsa_kernel _ZN9rocsparseL15bsrilu0_generalILj128ELj64ELb1E21rocsparse_complex_numIfEEEv20rocsparse_direction_iPKiS5_PT2_S5_iPiS5_S8_21rocsparse_index_base_imNS_24const_host_device_scalarIfEENSA_IdEENSA_IS6_EEb
		.amdhsa_group_segment_fixed_size 0
		.amdhsa_private_segment_fixed_size 0
		.amdhsa_kernarg_size 116
		.amdhsa_user_sgpr_count 2
		.amdhsa_user_sgpr_dispatch_ptr 0
		.amdhsa_user_sgpr_queue_ptr 0
		.amdhsa_user_sgpr_kernarg_segment_ptr 1
		.amdhsa_user_sgpr_dispatch_id 0
		.amdhsa_user_sgpr_kernarg_preload_length 0
		.amdhsa_user_sgpr_kernarg_preload_offset 0
		.amdhsa_user_sgpr_private_segment_size 0
		.amdhsa_wavefront_size32 1
		.amdhsa_uses_dynamic_stack 0
		.amdhsa_enable_private_segment 0
		.amdhsa_system_sgpr_workgroup_id_x 1
		.amdhsa_system_sgpr_workgroup_id_y 0
		.amdhsa_system_sgpr_workgroup_id_z 0
		.amdhsa_system_sgpr_workgroup_info 0
		.amdhsa_system_vgpr_workitem_id 0
		.amdhsa_next_free_vgpr 44
		.amdhsa_next_free_sgpr 46
		.amdhsa_named_barrier_count 0
		.amdhsa_reserve_vcc 1
		.amdhsa_float_round_mode_32 0
		.amdhsa_float_round_mode_16_64 0
		.amdhsa_float_denorm_mode_32 3
		.amdhsa_float_denorm_mode_16_64 3
		.amdhsa_fp16_overflow 0
		.amdhsa_memory_ordered 1
		.amdhsa_forward_progress 1
		.amdhsa_inst_pref_size 38
		.amdhsa_round_robin_scheduling 0
		.amdhsa_exception_fp_ieee_invalid_op 0
		.amdhsa_exception_fp_denorm_src 0
		.amdhsa_exception_fp_ieee_div_zero 0
		.amdhsa_exception_fp_ieee_overflow 0
		.amdhsa_exception_fp_ieee_underflow 0
		.amdhsa_exception_fp_ieee_inexact 0
		.amdhsa_exception_int_div_zero 0
	.end_amdhsa_kernel
	.section	.text._ZN9rocsparseL15bsrilu0_generalILj128ELj64ELb1E21rocsparse_complex_numIfEEEv20rocsparse_direction_iPKiS5_PT2_S5_iPiS5_S8_21rocsparse_index_base_imNS_24const_host_device_scalarIfEENSA_IdEENSA_IS6_EEb,"axG",@progbits,_ZN9rocsparseL15bsrilu0_generalILj128ELj64ELb1E21rocsparse_complex_numIfEEEv20rocsparse_direction_iPKiS5_PT2_S5_iPiS5_S8_21rocsparse_index_base_imNS_24const_host_device_scalarIfEENSA_IdEENSA_IS6_EEb,comdat
.Lfunc_end14:
	.size	_ZN9rocsparseL15bsrilu0_generalILj128ELj64ELb1E21rocsparse_complex_numIfEEEv20rocsparse_direction_iPKiS5_PT2_S5_iPiS5_S8_21rocsparse_index_base_imNS_24const_host_device_scalarIfEENSA_IdEENSA_IS6_EEb, .Lfunc_end14-_ZN9rocsparseL15bsrilu0_generalILj128ELj64ELb1E21rocsparse_complex_numIfEEEv20rocsparse_direction_iPKiS5_PT2_S5_iPiS5_S8_21rocsparse_index_base_imNS_24const_host_device_scalarIfEENSA_IdEENSA_IS6_EEb
                                        ; -- End function
	.set _ZN9rocsparseL15bsrilu0_generalILj128ELj64ELb1E21rocsparse_complex_numIfEEEv20rocsparse_direction_iPKiS5_PT2_S5_iPiS5_S8_21rocsparse_index_base_imNS_24const_host_device_scalarIfEENSA_IdEENSA_IS6_EEb.num_vgpr, 44
	.set _ZN9rocsparseL15bsrilu0_generalILj128ELj64ELb1E21rocsparse_complex_numIfEEEv20rocsparse_direction_iPKiS5_PT2_S5_iPiS5_S8_21rocsparse_index_base_imNS_24const_host_device_scalarIfEENSA_IdEENSA_IS6_EEb.num_agpr, 0
	.set _ZN9rocsparseL15bsrilu0_generalILj128ELj64ELb1E21rocsparse_complex_numIfEEEv20rocsparse_direction_iPKiS5_PT2_S5_iPiS5_S8_21rocsparse_index_base_imNS_24const_host_device_scalarIfEENSA_IdEENSA_IS6_EEb.numbered_sgpr, 46
	.set _ZN9rocsparseL15bsrilu0_generalILj128ELj64ELb1E21rocsparse_complex_numIfEEEv20rocsparse_direction_iPKiS5_PT2_S5_iPiS5_S8_21rocsparse_index_base_imNS_24const_host_device_scalarIfEENSA_IdEENSA_IS6_EEb.num_named_barrier, 0
	.set _ZN9rocsparseL15bsrilu0_generalILj128ELj64ELb1E21rocsparse_complex_numIfEEEv20rocsparse_direction_iPKiS5_PT2_S5_iPiS5_S8_21rocsparse_index_base_imNS_24const_host_device_scalarIfEENSA_IdEENSA_IS6_EEb.private_seg_size, 0
	.set _ZN9rocsparseL15bsrilu0_generalILj128ELj64ELb1E21rocsparse_complex_numIfEEEv20rocsparse_direction_iPKiS5_PT2_S5_iPiS5_S8_21rocsparse_index_base_imNS_24const_host_device_scalarIfEENSA_IdEENSA_IS6_EEb.uses_vcc, 1
	.set _ZN9rocsparseL15bsrilu0_generalILj128ELj64ELb1E21rocsparse_complex_numIfEEEv20rocsparse_direction_iPKiS5_PT2_S5_iPiS5_S8_21rocsparse_index_base_imNS_24const_host_device_scalarIfEENSA_IdEENSA_IS6_EEb.uses_flat_scratch, 0
	.set _ZN9rocsparseL15bsrilu0_generalILj128ELj64ELb1E21rocsparse_complex_numIfEEEv20rocsparse_direction_iPKiS5_PT2_S5_iPiS5_S8_21rocsparse_index_base_imNS_24const_host_device_scalarIfEENSA_IdEENSA_IS6_EEb.has_dyn_sized_stack, 0
	.set _ZN9rocsparseL15bsrilu0_generalILj128ELj64ELb1E21rocsparse_complex_numIfEEEv20rocsparse_direction_iPKiS5_PT2_S5_iPiS5_S8_21rocsparse_index_base_imNS_24const_host_device_scalarIfEENSA_IdEENSA_IS6_EEb.has_recursion, 0
	.set _ZN9rocsparseL15bsrilu0_generalILj128ELj64ELb1E21rocsparse_complex_numIfEEEv20rocsparse_direction_iPKiS5_PT2_S5_iPiS5_S8_21rocsparse_index_base_imNS_24const_host_device_scalarIfEENSA_IdEENSA_IS6_EEb.has_indirect_call, 0
	.section	.AMDGPU.csdata,"",@progbits
; Kernel info:
; codeLenInByte = 4852
; TotalNumSgprs: 48
; NumVgprs: 44
; ScratchSize: 0
; MemoryBound: 0
; FloatMode: 240
; IeeeMode: 1
; LDSByteSize: 0 bytes/workgroup (compile time only)
; SGPRBlocks: 0
; VGPRBlocks: 2
; NumSGPRsForWavesPerEU: 48
; NumVGPRsForWavesPerEU: 44
; NamedBarCnt: 0
; Occupancy: 16
; WaveLimiterHint : 1
; COMPUTE_PGM_RSRC2:SCRATCH_EN: 0
; COMPUTE_PGM_RSRC2:USER_SGPR: 2
; COMPUTE_PGM_RSRC2:TRAP_HANDLER: 0
; COMPUTE_PGM_RSRC2:TGID_X_EN: 1
; COMPUTE_PGM_RSRC2:TGID_Y_EN: 0
; COMPUTE_PGM_RSRC2:TGID_Z_EN: 0
; COMPUTE_PGM_RSRC2:TIDIG_COMP_CNT: 0
	.section	.text._ZN9rocsparseL15bsrilu0_generalILj128ELj32ELb0E21rocsparse_complex_numIfEEEv20rocsparse_direction_iPKiS5_PT2_S5_iPiS5_S8_21rocsparse_index_base_imNS_24const_host_device_scalarIfEENSA_IdEENSA_IS6_EEb,"axG",@progbits,_ZN9rocsparseL15bsrilu0_generalILj128ELj32ELb0E21rocsparse_complex_numIfEEEv20rocsparse_direction_iPKiS5_PT2_S5_iPiS5_S8_21rocsparse_index_base_imNS_24const_host_device_scalarIfEENSA_IdEENSA_IS6_EEb,comdat
	.globl	_ZN9rocsparseL15bsrilu0_generalILj128ELj32ELb0E21rocsparse_complex_numIfEEEv20rocsparse_direction_iPKiS5_PT2_S5_iPiS5_S8_21rocsparse_index_base_imNS_24const_host_device_scalarIfEENSA_IdEENSA_IS6_EEb ; -- Begin function _ZN9rocsparseL15bsrilu0_generalILj128ELj32ELb0E21rocsparse_complex_numIfEEEv20rocsparse_direction_iPKiS5_PT2_S5_iPiS5_S8_21rocsparse_index_base_imNS_24const_host_device_scalarIfEENSA_IdEENSA_IS6_EEb
	.p2align	8
	.type	_ZN9rocsparseL15bsrilu0_generalILj128ELj32ELb0E21rocsparse_complex_numIfEEEv20rocsparse_direction_iPKiS5_PT2_S5_iPiS5_S8_21rocsparse_index_base_imNS_24const_host_device_scalarIfEENSA_IdEENSA_IS6_EEb,@function
_ZN9rocsparseL15bsrilu0_generalILj128ELj32ELb0E21rocsparse_complex_numIfEEEv20rocsparse_direction_iPKiS5_PT2_S5_iPiS5_S8_21rocsparse_index_base_imNS_24const_host_device_scalarIfEENSA_IdEENSA_IS6_EEb: ; @_ZN9rocsparseL15bsrilu0_generalILj128ELj32ELb0E21rocsparse_complex_numIfEEEv20rocsparse_direction_iPKiS5_PT2_S5_iPiS5_S8_21rocsparse_index_base_imNS_24const_host_device_scalarIfEENSA_IdEENSA_IS6_EEb
; %bb.0:
	s_clause 0x2
	s_load_b32 s2, s[0:1], 0x70
	s_load_b64 s[6:7], s[0:1], 0x48
	s_load_b256 s[16:23], s[0:1], 0x50
	s_wait_kmcnt 0x0
	s_bitcmp1_b32 s2, 0
	s_cselect_b32 s4, -1, 0
	s_cmp_eq_u32 s7, 0
	s_cselect_b32 s2, -1, 0
	s_cmp_lg_u32 s7, 0
	s_cselect_b32 s5, -1, 0
	s_or_b32 s8, s2, s4
	s_delay_alu instid0(SALU_CYCLE_1)
	s_xor_b32 s7, s8, -1
	s_and_b32 s2, s2, exec_lo
	s_cselect_b32 s3, 0, s21
	s_cselect_b32 s2, 0, s20
	;; [unrolled: 1-line block ×3, first 2 shown]
	s_and_b32 vcc_lo, exec_lo, s8
	s_cbranch_vccnz .LBB15_2
; %bb.1:
	s_load_b32 s28, s[18:19], 0x0
	s_mov_b64 s[2:3], s[20:21]
.LBB15_2:
	s_delay_alu instid0(SALU_CYCLE_1)
	v_mov_b64_e32 v[4:5], s[2:3]
	s_and_not1_b32 vcc_lo, exec_lo, s7
	s_cbranch_vccnz .LBB15_4
; %bb.3:
	v_mov_b32_e32 v1, 0
	flat_load_b64 v[4:5], v1, s[20:21]
.LBB15_4:
	v_cndmask_b32_e64 v24, 0, 1, s5
	s_mov_b32 s26, 0
	s_and_not1_b32 vcc_lo, exec_lo, s5
	s_mov_b32 s27, s26
	s_cbranch_vccnz .LBB15_10
; %bb.5:
	s_xor_b32 s2, s4, -1
	s_mov_b32 s26, s22
	s_wait_xcnt 0x0
	v_cndmask_b32_e64 v1, 0, 1, s2
	s_and_not1_b32 vcc_lo, exec_lo, s2
	s_cbranch_vccnz .LBB15_7
; %bb.6:
	s_load_b32 s26, s[22:23], 0x0
.LBB15_7:
	s_delay_alu instid0(VALU_DEP_1)
	v_cmp_ne_u32_e32 vcc_lo, 1, v1
	s_cbranch_vccnz .LBB15_9
; %bb.8:
	s_wait_xcnt 0x0
	s_load_b32 s23, s[22:23], 0x4
.LBB15_9:
	s_wait_kmcnt 0x0
	s_mov_b32 s27, s23
.LBB15_10:
	s_load_b64 s[24:25], s[0:1], 0x0
	s_bfe_u32 s2, ttmp6, 0x4000c
	s_and_b32 s3, ttmp6, 15
	s_add_co_i32 s2, s2, 1
	s_getreg_b32 s4, hwreg(HW_REG_IB_STS2, 6, 4)
	s_mul_i32 s2, ttmp9, s2
	v_lshrrev_b32_e32 v1, 5, v0
	s_add_co_i32 s3, s3, s2
	s_cmp_eq_u32 s4, 0
	s_cselect_b32 s2, ttmp9, s3
	s_delay_alu instid0(SALU_CYCLE_1) | instskip(NEXT) | instid1(SALU_CYCLE_1)
	s_lshl_b32 s2, s2, 2
	v_and_or_b32 v1, 0x7fffffc, s2, v1
	s_mov_b32 s2, exec_lo
	s_wait_kmcnt 0x0
	s_delay_alu instid0(VALU_DEP_1)
	v_cmpx_gt_i32_e64 s25, v1
	s_cbranch_execz .LBB15_149
; %bb.11:
	s_clause 0x2
	s_load_b128 s[20:23], s[0:1], 0x30
	s_load_b64 s[18:19], s[0:1], 0x40
	s_load_b256 s[8:15], s[0:1], 0x8
	s_mov_b32 s2, -1
	s_mov_b32 s5, exec_lo
	s_wait_kmcnt 0x0
	global_load_b32 v2, v1, s[22:23] scale_offset
	s_wait_loadcnt 0x0
	v_dual_ashrrev_i32 v3, 31, v2 :: v_dual_bitop2_b32 v22, 31, v0 bitop3:0x40
	global_load_b32 v25, v2, s[14:15] scale_offset
	s_wait_loadcnt 0x0
	v_cmpx_ne_u32_e32 -1, v25
	s_cbranch_execz .LBB15_143
; %bb.12:
	v_lshl_add_u64 v[0:1], v[2:3], 2, s[8:9]
	s_load_b32 s7, s[0:1], 0x28
	s_mov_b32 s2, 0
	s_mov_b32 s22, exec_lo
	global_load_b64 v[0:1], v[0:1], off
	s_wait_loadcnt 0x0
	v_subrev_nc_u32_e32 v26, s6, v0
	v_subrev_nc_u32_e32 v23, s6, v1
	s_delay_alu instid0(VALU_DEP_2)
	v_cmpx_lt_i32_e64 v26, v25
	s_cbranch_execz .LBB15_78
; %bb.13:
	s_wait_kmcnt 0x0
	v_mad_u32 v1, s7, v26, v22
	s_cmp_gt_i32 s7, 0
	v_cmp_gt_i32_e64 s0, s7, v22
	v_cmp_le_i32_e64 s1, s7, v22
	s_cselect_b32 s29, -1, 0
	s_cmp_lg_u32 s24, 0
	s_mov_b32 s36, 0
	s_mul_i32 s23, s7, s7
	s_cselect_b32 s30, -1, 0
	s_add_co_i32 s25, s25, 1
	s_add_co_i32 s31, s7, 1
	v_mul_lo_u32 v27, s7, v1
	v_add_nc_u32_e32 v0, v26, v22
	s_lshl_b32 s33, s7, 5
	s_add_co_i32 s34, s7, -1
	s_mov_b32 s35, 0
                                        ; implicit-def: $sgpr37
                                        ; implicit-def: $sgpr38
	s_delay_alu instid0(VALU_DEP_1) | instskip(NEXT) | instid1(VALU_DEP_1)
	v_ashrrev_i32_e32 v1, 31, v0
	v_lshl_add_u64 v[6:7], v[0:1], 2, s[10:11]
	s_delay_alu instid0(VALU_DEP_4)
	v_add_nc_u32_e32 v1, 1, v27
	v_cmp_lt_i32_e64 s2, v0, v23
	s_branch .LBB15_16
.LBB15_14:                              ;   in Loop: Header=BB15_16 Depth=1
	s_or_b32 exec_lo, exec_lo, s4
	s_delay_alu instid0(SALU_CYCLE_1) | instskip(SKIP_1) | instid1(SALU_CYCLE_1)
	s_and_not1_b32 s4, s38, exec_lo
	s_and_b32 s36, s36, exec_lo
	s_or_b32 s38, s4, s36
.LBB15_15:                              ;   in Loop: Header=BB15_16 Depth=1
	s_or_b32 exec_lo, exec_lo, s39
	v_dual_add_nc_u32 v26, 1, v26 :: v_dual_add_nc_u32 v1, s23, v1
	s_xor_b32 s3, s3, -1
	v_add_nc_u32_e32 v27, s23, v27
	s_mov_b32 s36, s38
	s_delay_alu instid0(VALU_DEP_2) | instskip(SKIP_1) | instid1(SALU_CYCLE_1)
	v_cmp_ge_i32_e32 vcc_lo, v26, v25
	s_or_b32 s3, s3, vcc_lo
	s_and_b32 s3, exec_lo, s3
	s_delay_alu instid0(SALU_CYCLE_1) | instskip(SKIP_2) | instid1(SALU_CYCLE_1)
	s_or_b32 s35, s3, s35
	s_and_not1_b32 s3, s37, exec_lo
	s_and_b32 s4, s38, exec_lo
	s_or_b32 s37, s3, s4
	s_and_not1_b32 exec_lo, exec_lo, s35
	s_cbranch_execz .LBB15_77
.LBB15_16:                              ; =>This Loop Header: Depth=1
                                        ;     Child Loop BB15_19 Depth 2
                                        ;     Child Loop BB15_24 Depth 2
                                        ;       Child Loop BB15_29 Depth 3
                                        ;         Child Loop BB15_38 Depth 4
                                        ;     Child Loop BB15_51 Depth 2
                                        ;       Child Loop BB15_56 Depth 3
                                        ;       Child Loop BB15_63 Depth 3
                                        ;         Child Loop BB15_65 Depth 4
                                        ;           Child Loop BB15_67 Depth 5
	s_wait_dscnt 0x0
	global_load_b32 v8, v26, s[10:11] scale_offset
	s_or_b32 s38, s38, exec_lo
	s_wait_loadcnt 0x0
	v_subrev_nc_u32_e32 v8, s6, v8
	global_load_b32 v29, v8, s[14:15] scale_offset
	s_wait_loadcnt 0x0
	v_cmp_ne_u32_e64 s3, -1, v29
	s_wait_xcnt 0x0
	s_and_saveexec_b32 s39, s3
	s_cbranch_execz .LBB15_15
; %bb.17:                               ;   in Loop: Header=BB15_16 Depth=1
	v_ashrrev_i32_e32 v9, 31, v8
	s_mov_b32 s4, exec_lo
	s_delay_alu instid0(VALU_DEP_1) | instskip(NEXT) | instid1(VALU_DEP_1)
	v_lshlrev_b64_e32 v[8:9], 2, v[8:9]
	v_add_nc_u64_e32 v[10:11], s[8:9], v[8:9]
	v_add_nc_u64_e32 v[8:9], s[20:21], v[8:9]
	global_load_b32 v30, v[10:11], off offset:4
	global_load_b32 v12, v[8:9], off scope:SCOPE_DEV
	s_wait_loadcnt 0x0
	s_wait_xcnt 0x0
	v_cmpx_eq_u32_e32 0, v12
	s_cbranch_execz .LBB15_20
; %bb.18:                               ;   in Loop: Header=BB15_16 Depth=1
	s_mov_b32 s40, 0
.LBB15_19:                              ;   Parent Loop BB15_16 Depth=1
                                        ; =>  This Inner Loop Header: Depth=2
	global_load_b32 v10, v[8:9], off scope:SCOPE_DEV
	s_wait_loadcnt 0x0
	v_cmp_ne_u32_e32 vcc_lo, 0, v10
	s_or_b32 s40, vcc_lo, s40
	s_wait_xcnt 0x0
	s_and_not1_b32 exec_lo, exec_lo, s40
	s_cbranch_execnz .LBB15_19
.LBB15_20:                              ;   in Loop: Header=BB15_16 Depth=1
	s_or_b32 exec_lo, exec_lo, s4
	v_mul_lo_u32 v28, v26, s7
	s_and_not1_b32 vcc_lo, exec_lo, s29
	s_wait_dscnt 0x0
	global_inv scope:SCOPE_DEV
	s_cbranch_vccnz .LBB15_47
; %bb.21:                               ;   in Loop: Header=BB15_16 Depth=1
	v_mul_lo_u32 v31, v29, s7
	v_mad_u32 v32, s23, v29, 1
	v_dual_mov_b32 v33, 0 :: v_dual_mov_b32 v34, v1
	s_mov_b32 s40, 0
	s_mov_b32 s41, s34
	s_branch .LBB15_24
.LBB15_22:                              ;   in Loop: Header=BB15_24 Depth=2
	s_or_b32 exec_lo, exec_lo, s43
	v_mov_b32_e32 v33, v35
.LBB15_23:                              ;   in Loop: Header=BB15_24 Depth=2
	s_or_b32 exec_lo, exec_lo, s42
	s_delay_alu instid0(VALU_DEP_1) | instskip(SKIP_3) | instid1(SALU_CYCLE_1)
	v_cmp_eq_u32_e32 vcc_lo, s7, v33
	v_dual_add_nc_u32 v32, s31, v32 :: v_dual_add_nc_u32 v34, 1, v34
	s_add_co_i32 s41, s41, -1
	s_or_b32 s40, vcc_lo, s40
	s_and_not1_b32 exec_lo, exec_lo, s40
	s_cbranch_execz .LBB15_46
.LBB15_24:                              ;   Parent Loop BB15_16 Depth=1
                                        ; =>  This Loop Header: Depth=2
                                        ;       Child Loop BB15_29 Depth 3
                                        ;         Child Loop BB15_38 Depth 4
	s_delay_alu instid0(VALU_DEP_1) | instskip(SKIP_1) | instid1(SALU_CYCLE_1)
	v_add_nc_u32_e32 v35, 1, v33
	s_and_saveexec_b32 s4, s1
	s_xor_b32 s4, exec_lo, s4
; %bb.25:                               ;   in Loop: Header=BB15_24 Depth=2
	v_add_nc_u32_e32 v33, 1, v33
                                        ; implicit-def: $vgpr35
; %bb.26:                               ;   in Loop: Header=BB15_24 Depth=2
	s_and_not1_saveexec_b32 s42, s4
	s_cbranch_execz .LBB15_23
; %bb.27:                               ;   in Loop: Header=BB15_24 Depth=2
	s_delay_alu instid0(VALU_DEP_1)
	v_add_nc_u32_e32 v8, v33, v31
	v_cmp_gt_i32_e64 s4, s7, v35
	v_mov_b32_e32 v38, v22
	s_mov_b32 s43, 0
	v_mov_b32_e32 v37, v34
	v_mad_u32 v8, v8, s7, v33
	global_load_b64 v[8:9], v8, s[12:13] scale_offset
	s_wait_loadcnt 0x0
	v_mul_f32_e32 v10, v9, v9
	s_delay_alu instid0(VALU_DEP_1) | instskip(NEXT) | instid1(VALU_DEP_1)
	v_fmac_f32_e32 v10, v8, v8
	v_div_scale_f32 v11, null, v10, v10, 1.0
	v_div_scale_f32 v14, vcc_lo, 1.0, v10, 1.0
	s_delay_alu instid0(VALU_DEP_2) | instskip(SKIP_1) | instid1(TRANS32_DEP_1)
	v_rcp_f32_e32 v12, v11
	v_nop
	v_fma_f32 v13, -v11, v12, 1.0
	s_delay_alu instid0(VALU_DEP_1) | instskip(NEXT) | instid1(VALU_DEP_1)
	v_fmac_f32_e32 v12, v13, v12
	v_mul_f32_e32 v13, v14, v12
	s_delay_alu instid0(VALU_DEP_1) | instskip(NEXT) | instid1(VALU_DEP_1)
	v_fma_f32 v15, -v11, v13, v14
	v_fmac_f32_e32 v13, v15, v12
	s_delay_alu instid0(VALU_DEP_1) | instskip(NEXT) | instid1(VALU_DEP_1)
	v_dual_fma_f32 v11, -v11, v13, v14 :: v_dual_add_nc_u32 v14, v33, v28
	v_div_fmas_f32 v11, v11, v12, v13
	s_delay_alu instid0(VALU_DEP_2) | instskip(SKIP_1) | instid1(VALU_DEP_3)
	v_mul_lo_u32 v36, v14, s7
	v_dual_mov_b32 v12, v8 :: v_dual_mov_b32 v13, v8
	v_div_fixup_f32 v10, v11, v10, 1.0
	s_wait_xcnt 0x0
	s_delay_alu instid0(VALU_DEP_1)
	v_dual_mov_b32 v8, v9 :: v_dual_mov_b32 v11, v10
	s_branch .LBB15_29
.LBB15_28:                              ;   in Loop: Header=BB15_29 Depth=3
	s_wait_xcnt 0x0
	s_or_b32 exec_lo, exec_lo, s44
	v_dual_add_nc_u32 v38, 32, v38 :: v_dual_add_nc_u32 v37, s33, v37
	s_delay_alu instid0(VALU_DEP_1) | instskip(SKIP_1) | instid1(SALU_CYCLE_1)
	v_cmp_le_i32_e32 vcc_lo, s7, v38
	s_or_b32 s43, vcc_lo, s43
	s_and_not1_b32 exec_lo, exec_lo, s43
	s_cbranch_execz .LBB15_22
.LBB15_29:                              ;   Parent Loop BB15_16 Depth=1
                                        ;     Parent Loop BB15_24 Depth=2
                                        ; =>    This Loop Header: Depth=3
                                        ;         Child Loop BB15_38 Depth 4
	s_delay_alu instid0(VALU_DEP_4)
	v_add_nc_u32_e32 v16, v38, v36
	s_and_b32 vcc_lo, exec_lo, s30
	s_cbranch_vccz .LBB15_44
; %bb.30:                               ;   in Loop: Header=BB15_29 Depth=3
	v_add_nc_u32_e32 v14, v38, v36
	v_add_nc_u32_e32 v15, v38, v28
	s_delay_alu instid0(VALU_DEP_1)
	v_mad_u32 v17, v15, s7, v33
	s_cbranch_execnz .LBB15_32
.LBB15_31:                              ;   in Loop: Header=BB15_29 Depth=3
	v_mad_u32 v14, v15, s7, v33
.LBB15_32:                              ;   in Loop: Header=BB15_29 Depth=3
	global_load_b64 v[14:15], v14, s[12:13] scale_offset
	s_and_b32 vcc_lo, exec_lo, s30
	s_cbranch_vccz .LBB15_45
; %bb.33:                               ;   in Loop: Header=BB15_29 Depth=3
	s_cbranch_execnz .LBB15_35
.LBB15_34:                              ;   in Loop: Header=BB15_29 Depth=3
	v_mov_b32_e32 v16, v17
.LBB15_35:                              ;   in Loop: Header=BB15_29 Depth=3
	s_wait_loadcnt 0x0
	v_pk_mul_f32 v[18:19], v[8:9], v[14:15] op_sel:[0,1] op_sel_hi:[1,0] neg_hi:[0,1]
	s_wait_xcnt 0x0
	s_delay_alu instid0(VALU_DEP_1) | instskip(NEXT) | instid1(VALU_DEP_1)
	v_pk_fma_f32 v[14:15], v[14:15], v[12:13], v[18:19]
	v_pk_mul_f32 v[14:15], v[10:11], v[14:15]
	global_store_b64 v16, v[14:15], s[12:13] scale_offset
	s_wait_xcnt 0x0
	s_and_saveexec_b32 s44, s4
	s_cbranch_execz .LBB15_28
; %bb.36:                               ;   in Loop: Header=BB15_29 Depth=3
	v_xor_b32_e32 v17, 0x80000000, v14
	v_dual_mov_b32 v16, v15 :: v_dual_mov_b32 v39, v37
	v_dual_mov_b32 v40, v32 :: v_dual_mov_b32 v41, v35
	s_mov_b32 s45, s41
	s_branch .LBB15_38
.LBB15_37:                              ;   in Loop: Header=BB15_38 Depth=4
	s_wait_loadcnt 0x0
	s_wait_xcnt 0x0
	v_pk_fma_f32 v[20:21], v[14:15], v[18:19], v[20:21] op_sel_hi:[1,0,1] neg_lo:[1,0,0] neg_hi:[1,0,0]
	v_dual_add_nc_u32 v41, 1, v41 :: v_dual_add_nc_u32 v40, 1, v40
	v_add_nc_u32_e32 v39, 1, v39
	s_add_co_i32 s45, s45, -1
	s_delay_alu instid0(VALU_DEP_3)
	v_pk_fma_f32 v[18:19], v[16:17], v[18:19], v[20:21] op_sel:[0,1,0]
	s_cmp_eq_u32 s45, 0
	global_store_b64 v43, v[18:19], s[12:13] scale_offset
	s_cbranch_scc1 .LBB15_28
.LBB15_38:                              ;   Parent Loop BB15_16 Depth=1
                                        ;     Parent Loop BB15_24 Depth=2
                                        ;       Parent Loop BB15_29 Depth=3
                                        ; =>      This Inner Loop Header: Depth=4
	s_wait_xcnt 0x0
	s_delay_alu instid0(VALU_DEP_1)
	v_mov_b32_e32 v18, v40
	s_and_not1_b32 vcc_lo, exec_lo, s30
	s_cbranch_vccnz .LBB15_40
; %bb.39:                               ;   in Loop: Header=BB15_38 Depth=4
	v_add_nc_u32_e32 v18, v41, v31
	s_delay_alu instid0(VALU_DEP_1)
	v_mad_u32 v18, v18, s7, v33
.LBB15_40:                              ;   in Loop: Header=BB15_38 Depth=4
	global_load_b64 v[18:19], v18, s[12:13] scale_offset
	v_dual_mov_b32 v21, v39 :: v_dual_add_nc_u32 v20, v41, v28
	s_and_not1_b32 vcc_lo, exec_lo, s30
	s_delay_alu instid0(VALU_DEP_1)
	v_mad_u32 v42, v20, s7, v38
	s_cbranch_vccnz .LBB15_42
; %bb.41:                               ;   in Loop: Header=BB15_38 Depth=4
	v_mad_u32 v21, v20, s7, v38
.LBB15_42:                              ;   in Loop: Header=BB15_38 Depth=4
	global_load_b64 v[20:21], v21, s[12:13] scale_offset
	v_mov_b32_e32 v43, v39
	s_and_not1_b32 vcc_lo, exec_lo, s30
	s_cbranch_vccnz .LBB15_37
; %bb.43:                               ;   in Loop: Header=BB15_38 Depth=4
	v_mov_b32_e32 v43, v42
	s_branch .LBB15_37
.LBB15_44:                              ;   in Loop: Header=BB15_29 Depth=3
                                        ; implicit-def: $vgpr14
	v_add_nc_u32_e32 v15, v38, v28
	s_delay_alu instid0(VALU_DEP_1)
	v_mad_u32 v17, v15, s7, v33
	s_branch .LBB15_31
.LBB15_45:                              ;   in Loop: Header=BB15_29 Depth=3
                                        ; implicit-def: $vgpr16
	s_branch .LBB15_34
.LBB15_46:                              ;   in Loop: Header=BB15_16 Depth=1
	s_or_b32 exec_lo, exec_lo, s40
.LBB15_47:                              ;   in Loop: Header=BB15_16 Depth=1
	v_subrev_nc_u32_e32 v12, s6, v30
	v_add_nc_u32_e32 v13, 1, v29
	s_mov_b32 s4, exec_lo
	s_delay_alu instid0(VALU_DEP_1)
	v_cmpx_lt_i32_e64 v13, v12
	s_cbranch_execz .LBB15_14
; %bb.48:                               ;   in Loop: Header=BB15_16 Depth=1
	v_mul_lo_u32 v14, s23, v13
	s_mov_b32 s40, 0
	s_branch .LBB15_51
.LBB15_49:                              ;   in Loop: Header=BB15_51 Depth=2
	s_or_b32 exec_lo, exec_lo, s41
.LBB15_50:                              ;   in Loop: Header=BB15_51 Depth=2
	v_dual_add_nc_u32 v13, 1, v13 :: v_dual_add_nc_u32 v14, s23, v14
	s_delay_alu instid0(VALU_DEP_1) | instskip(SKIP_1) | instid1(SALU_CYCLE_1)
	v_cmp_ge_i32_e32 vcc_lo, v13, v12
	s_or_b32 s40, vcc_lo, s40
	s_and_not1_b32 exec_lo, exec_lo, s40
	s_cbranch_execz .LBB15_14
.LBB15_51:                              ;   Parent Loop BB15_16 Depth=1
                                        ; =>  This Loop Header: Depth=2
                                        ;       Child Loop BB15_56 Depth 3
                                        ;       Child Loop BB15_63 Depth 3
                                        ;         Child Loop BB15_65 Depth 4
                                        ;           Child Loop BB15_67 Depth 5
	s_wait_dscnt 0x0
	global_load_b32 v8, v13, s[10:11] scale_offset
	v_mov_b32_e32 v9, s25
	s_wait_xcnt 0x0
	s_and_saveexec_b32 s41, s2
	s_cbranch_execz .LBB15_53
; %bb.52:                               ;   in Loop: Header=BB15_51 Depth=2
	global_load_b32 v9, v[6:7], off
	s_wait_loadcnt 0x0
	v_subrev_nc_u32_e32 v9, s6, v9
.LBB15_53:                              ;   in Loop: Header=BB15_51 Depth=2
	s_wait_xcnt 0x0
	s_or_b32 exec_lo, exec_lo, s41
	s_wait_loadcnt 0x0
	v_subrev_nc_u32_e32 v8, s6, v8
	v_mov_b32_e32 v10, v0
	s_mov_b32 s41, exec_lo
	s_delay_alu instid0(VALU_DEP_2)
	v_cmpx_lt_i32_e64 v9, v8
	s_cbranch_execz .LBB15_59
; %bb.54:                               ;   in Loop: Header=BB15_51 Depth=2
	v_mov_b32_e32 v11, v0
	s_mov_b32 s42, 0
	s_branch .LBB15_56
.LBB15_55:                              ;   in Loop: Header=BB15_56 Depth=3
	s_wait_xcnt 0x0
	s_or_b32 exec_lo, exec_lo, s43
	s_delay_alu instid0(VALU_DEP_1) | instskip(SKIP_2) | instid1(SALU_CYCLE_1)
	v_cmp_ge_i32_e32 vcc_lo, v9, v8
	v_mov_b32_e32 v11, v10
	s_or_b32 s42, vcc_lo, s42
	s_and_not1_b32 exec_lo, exec_lo, s42
	s_cbranch_execz .LBB15_58
.LBB15_56:                              ;   Parent Loop BB15_16 Depth=1
                                        ;     Parent Loop BB15_51 Depth=2
                                        ; =>    This Inner Loop Header: Depth=3
	s_delay_alu instid0(VALU_DEP_1) | instskip(SKIP_1) | instid1(VALU_DEP_1)
	v_dual_mov_b32 v9, s25 :: v_dual_add_nc_u32 v10, 32, v11
	s_mov_b32 s43, exec_lo
	v_cmpx_lt_i32_e64 v10, v23
	s_cbranch_execz .LBB15_55
; %bb.57:                               ;   in Loop: Header=BB15_56 Depth=3
	global_load_b32 v9, v11, s[10:11] offset:128 scale_offset
	s_wait_loadcnt 0x0
	v_subrev_nc_u32_e32 v9, s6, v9
	s_branch .LBB15_55
.LBB15_58:                              ;   in Loop: Header=BB15_51 Depth=2
	s_or_b32 exec_lo, exec_lo, s42
.LBB15_59:                              ;   in Loop: Header=BB15_51 Depth=2
	s_delay_alu instid0(SALU_CYCLE_1)
	s_or_b32 exec_lo, exec_lo, s41
	v_cmp_eq_u32_e32 vcc_lo, v9, v8
	s_cbranch_vccz .LBB15_50
; %bb.60:                               ;   in Loop: Header=BB15_51 Depth=2
	s_ctz_i32_b32 s41, vcc_lo
	s_delay_alu instid0(SALU_CYCLE_1) | instskip(NEXT) | instid1(SALU_CYCLE_1)
	s_lshl_b32 s41, s41, 2
	v_mov_b32_e32 v8, s41
	ds_bpermute_b32 v8, v8, v10
	s_and_saveexec_b32 s41, s0
	s_cbranch_execz .LBB15_49
; %bb.61:                               ;   in Loop: Header=BB15_51 Depth=2
	v_mul_lo_u32 v15, v13, s7
	s_wait_dscnt 0x0
	v_mul_lo_u32 v16, v8, s7
	v_dual_mov_b32 v17, v27 :: v_dual_mov_b32 v18, v22
	s_mov_b32 s42, 0
	s_branch .LBB15_63
.LBB15_62:                              ;   in Loop: Header=BB15_63 Depth=3
	v_dual_add_nc_u32 v18, 32, v18 :: v_dual_add_nc_u32 v17, s33, v17
	s_delay_alu instid0(VALU_DEP_1)
	v_cmp_le_i32_e32 vcc_lo, s7, v18
	s_or_b32 s42, vcc_lo, s42
	s_wait_xcnt 0x0
	s_and_not1_b32 exec_lo, exec_lo, s42
	s_cbranch_execz .LBB15_49
.LBB15_63:                              ;   Parent Loop BB15_16 Depth=1
                                        ;     Parent Loop BB15_51 Depth=2
                                        ; =>    This Loop Header: Depth=3
                                        ;         Child Loop BB15_65 Depth 4
                                        ;           Child Loop BB15_67 Depth 5
	s_delay_alu instid0(VALU_DEP_1) | instskip(SKIP_2) | instid1(VALU_DEP_2)
	v_add_nc_u32_e32 v8, v18, v16
	v_mov_b32_e32 v20, v14
	s_mov_b32 s43, 0
	v_mul_lo_u32 v19, v8, s7
	s_branch .LBB15_65
.LBB15_64:                              ;   in Loop: Header=BB15_65 Depth=4
	global_load_b64 v[30:31], v10, s[12:13] scale_offset
	v_add_nc_u32_e32 v20, 1, v20
	s_add_co_i32 s43, s43, 1
	s_delay_alu instid0(SALU_CYCLE_1)
	s_cmp_eq_u32 s43, s7
	s_wait_loadcnt 0x0
	v_pk_add_f32 v[8:9], v[30:31], v[8:9] neg_lo:[0,1] neg_hi:[0,1]
	global_store_b64 v10, v[8:9], s[12:13] scale_offset
	s_cbranch_scc1 .LBB15_62
.LBB15_65:                              ;   Parent Loop BB15_16 Depth=1
                                        ;     Parent Loop BB15_51 Depth=2
                                        ;       Parent Loop BB15_63 Depth=3
                                        ; =>      This Loop Header: Depth=4
                                        ;           Child Loop BB15_67 Depth 5
	s_wait_xcnt 0x0
	v_dual_mov_b32 v29, v20 :: v_dual_add_nc_u32 v8, s43, v15
	s_mov_b32 s44, 0
	s_delay_alu instid0(VALU_DEP_1) | instskip(SKIP_1) | instid1(VALU_DEP_1)
	v_mul_lo_u32 v21, v8, s7
	v_mov_b32_e32 v8, 0
	v_mov_b32_e32 v9, v8
	s_branch .LBB15_67
.LBB15_66:                              ;   in Loop: Header=BB15_67 Depth=5
	global_load_b64 v[30:31], v30, s[12:13] scale_offset
	v_add_nc_u32_e32 v29, s7, v29
	s_add_co_i32 s44, s44, 1
	s_delay_alu instid0(SALU_CYCLE_1) | instskip(SKIP_2) | instid1(VALU_DEP_1)
	s_cmp_eq_u32 s7, s44
	s_wait_loadcnt 0x0
	v_pk_fma_f32 v[8:9], v[10:11], v[30:31], v[8:9] op_sel_hi:[1,0,1]
	v_pk_fma_f32 v[8:9], v[10:11], v[30:31], v[8:9] op_sel:[1,1,0] op_sel_hi:[0,1,1] neg_lo:[1,0,0]
	s_cbranch_scc1 .LBB15_73
.LBB15_67:                              ;   Parent Loop BB15_16 Depth=1
                                        ;     Parent Loop BB15_51 Depth=2
                                        ;       Parent Loop BB15_63 Depth=3
                                        ;         Parent Loop BB15_65 Depth=4
                                        ; =>        This Inner Loop Header: Depth=5
	s_and_b32 vcc_lo, exec_lo, s30
	s_cbranch_vccz .LBB15_72
; %bb.68:                               ;   in Loop: Header=BB15_67 Depth=5
	s_wait_xcnt 0x1
	v_add_nc_u32_e32 v10, s44, v28
	s_delay_alu instid0(VALU_DEP_1)
	v_mad_u32 v10, v10, s7, v18
	s_cbranch_execnz .LBB15_70
.LBB15_69:                              ;   in Loop: Header=BB15_67 Depth=5
	s_wait_xcnt 0x1
	v_add_nc_u32_e32 v10, s44, v17
.LBB15_70:                              ;   in Loop: Header=BB15_67 Depth=5
	global_load_b64 v[10:11], v10, s[12:13] scale_offset
	s_wait_xcnt 0x1
	v_mov_b32_e32 v30, v29
	s_and_not1_b32 vcc_lo, exec_lo, s30
	s_cbranch_vccnz .LBB15_66
; %bb.71:                               ;   in Loop: Header=BB15_67 Depth=5
	v_add_nc_u32_e32 v30, s44, v21
	s_branch .LBB15_66
.LBB15_72:                              ;   in Loop: Header=BB15_67 Depth=5
                                        ; implicit-def: $vgpr10
	s_branch .LBB15_69
.LBB15_73:                              ;   in Loop: Header=BB15_65 Depth=4
	s_and_b32 vcc_lo, exec_lo, s30
	s_cbranch_vccz .LBB15_75
; %bb.74:                               ;   in Loop: Header=BB15_65 Depth=4
	s_wait_xcnt 0x1
	v_add_nc_u32_e32 v10, s43, v16
	s_delay_alu instid0(VALU_DEP_1)
	v_mad_u32 v10, v10, s7, v18
	s_cbranch_execnz .LBB15_64
	s_branch .LBB15_76
.LBB15_75:                              ;   in Loop: Header=BB15_65 Depth=4
                                        ; implicit-def: $vgpr10
.LBB15_76:                              ;   in Loop: Header=BB15_65 Depth=4
	s_wait_xcnt 0x1
	v_add_nc_u32_e32 v10, s43, v19
	s_branch .LBB15_64
.LBB15_77:
	s_or_b32 exec_lo, exec_lo, s35
	s_delay_alu instid0(SALU_CYCLE_1)
	s_and_b32 s2, s37, exec_lo
.LBB15_78:
	s_or_b32 exec_lo, exec_lo, s22
	global_load_b32 v0, v25, s[10:11] scale_offset
	s_wait_kmcnt 0x0
	s_cmp_gt_i32 s7, 0
	s_mov_b32 s8, 0
	s_cselect_b32 s3, -1, 0
	s_wait_loadcnt 0x0
	v_subrev_nc_u32_e32 v0, s6, v0
	s_delay_alu instid0(VALU_DEP_1)
	v_cmp_eq_u32_e32 vcc_lo, v0, v2
	s_and_b32 s0, s3, vcc_lo
	s_wait_xcnt 0x0
	s_and_saveexec_b32 s4, s0
	s_cbranch_execz .LBB15_118
; %bb.79:
	v_cvt_f64_f32_e32 v[0:1], s28
	v_mul_lo_u32 v18, v25, s7
	s_cmp_eq_u64 s[16:17], 8
	s_mul_i32 s0, s7, s7
	s_cselect_b32 vcc_lo, -1, 0
	s_cmp_lg_u32 s24, 0
	v_mad_u32 v19, v25, s0, 1
	s_cselect_b32 s9, -1, 0
	s_add_co_i32 s10, s7, 1
	v_cmp_eq_u32_e64 s0, 0, v22
	s_lshl_b32 s11, s7, 5
	s_add_co_i32 s14, s7, -1
	v_add_nc_u32_e32 v6, v18, v22
	s_mov_b32 s16, s2
                                        ; implicit-def: $sgpr15
	s_wait_dscnt 0x0
	v_dual_mov_b32 v21, 0 :: v_dual_cndmask_b32 v0, v0, v4
	v_cndmask_b32_e32 v1, v1, v5, vcc_lo
	v_mad_u32 v20, s7, v6, s10
	s_branch .LBB15_81
.LBB15_80:                              ;   in Loop: Header=BB15_81 Depth=1
	s_or_b32 exec_lo, exec_lo, s1
	s_delay_alu instid0(VALU_DEP_1)
	v_cmp_eq_u32_e32 vcc_lo, s7, v27
	s_add_co_i32 s14, s14, -1
	v_dual_add_nc_u32 v19, s10, v19 :: v_dual_add_nc_u32 v20, s10, v20
	v_mov_b32_e32 v21, v27
	s_or_b32 s8, vcc_lo, s8
	s_and_not1_b32 s1, s15, exec_lo
	s_and_b32 s15, s16, exec_lo
	s_delay_alu instid0(SALU_CYCLE_1)
	s_or_b32 s15, s1, s15
	s_and_not1_b32 exec_lo, exec_lo, s8
	s_cbranch_execz .LBB15_117
.LBB15_81:                              ; =>This Loop Header: Depth=1
                                        ;     Child Loop BB15_97 Depth 2
                                        ;       Child Loop BB15_106 Depth 3
	s_delay_alu instid0(VALU_DEP_3)
	v_add_nc_u32_e32 v4, v21, v18
	v_cmp_ne_u32_e32 vcc_lo, 1, v24
	s_mov_b32 s17, 0
	s_mov_b32 s1, 0
	s_mov_b32 s22, -1
	v_mul_lo_u32 v26, v4, s7
	s_and_b32 vcc_lo, exec_lo, vcc_lo
                                        ; implicit-def: $vgpr4_vgpr5
	s_delay_alu instid0(VALU_DEP_1)
	v_add_nc_u32_e32 v8, v26, v21
	s_wait_loadcnt 0x0
	global_load_b64 v[6:7], v8, s[12:13] scale_offset
	s_cbranch_vccz .LBB15_84
; %bb.82:                               ;   in Loop: Header=BB15_81 Depth=1
	s_and_b32 vcc_lo, exec_lo, s22
	s_cbranch_vccnz .LBB15_93
.LBB15_83:                              ;   in Loop: Header=BB15_81 Depth=1
                                        ; implicit-def: $vgpr27
	s_wait_xcnt 0x0
	s_and_saveexec_b32 s22, s1
	s_delay_alu instid0(SALU_CYCLE_1)
	s_xor_b32 s22, exec_lo, s22
	s_cbranch_execnz .LBB15_94
	s_branch .LBB15_115
.LBB15_84:                              ;   in Loop: Header=BB15_81 Depth=1
	s_wait_loadcnt 0x0
	v_cmp_gt_f32_e32 vcc_lo, 0, v6
                                        ; implicit-def: $vgpr9
	s_mov_b32 s1, exec_lo
	v_cndmask_b32_e64 v4, v6, -v6, vcc_lo
	v_cmp_gt_f32_e32 vcc_lo, 0, v7
	v_cndmask_b32_e64 v5, v7, -v7, vcc_lo
	s_wait_xcnt 0x0
	s_delay_alu instid0(VALU_DEP_1)
	v_cmpx_ngt_f32_e32 v4, v5
	s_xor_b32 s22, exec_lo, s1
	s_cbranch_execz .LBB15_88
; %bb.85:                               ;   in Loop: Header=BB15_81 Depth=1
	v_mov_b32_e32 v9, 0
	s_mov_b32 s23, exec_lo
	v_cmpx_neq_f32_e32 0, v7
	s_cbranch_execz .LBB15_87
; %bb.86:                               ;   in Loop: Header=BB15_81 Depth=1
	v_div_scale_f32 v9, null, v5, v5, v4
	v_div_scale_f32 v12, vcc_lo, v4, v5, v4
	s_delay_alu instid0(VALU_DEP_2) | instskip(SKIP_1) | instid1(TRANS32_DEP_1)
	v_rcp_f32_e32 v10, v9
	v_nop
	v_fma_f32 v11, -v9, v10, 1.0
	s_delay_alu instid0(VALU_DEP_1) | instskip(NEXT) | instid1(VALU_DEP_1)
	v_fmac_f32_e32 v10, v11, v10
	v_mul_f32_e32 v11, v12, v10
	s_delay_alu instid0(VALU_DEP_1) | instskip(NEXT) | instid1(VALU_DEP_1)
	v_fma_f32 v13, -v9, v11, v12
	v_fmac_f32_e32 v11, v13, v10
	s_delay_alu instid0(VALU_DEP_1) | instskip(NEXT) | instid1(VALU_DEP_1)
	v_fma_f32 v9, -v9, v11, v12
	v_div_fmas_f32 v9, v9, v10, v11
	s_delay_alu instid0(VALU_DEP_1) | instskip(NEXT) | instid1(VALU_DEP_1)
	v_div_fixup_f32 v4, v9, v5, v4
	v_fma_f32 v4, v4, v4, 1.0
	s_delay_alu instid0(VALU_DEP_1) | instskip(SKIP_1) | instid1(VALU_DEP_2)
	v_mul_f32_e32 v9, 0x4f800000, v4
	v_cmp_gt_f32_e32 vcc_lo, 0xf800000, v4
	v_cndmask_b32_e32 v4, v4, v9, vcc_lo
	s_delay_alu instid0(VALU_DEP_1) | instskip(SKIP_1) | instid1(TRANS32_DEP_1)
	v_sqrt_f32_e32 v9, v4
	v_nop
	v_dual_add_nc_u32 v10, -1, v9 :: v_dual_add_nc_u32 v11, 1, v9
	s_delay_alu instid0(VALU_DEP_1) | instskip(NEXT) | instid1(VALU_DEP_1)
	v_fma_f32 v12, -v10, v9, v4
	v_cmp_ge_f32_e64 s1, 0, v12
	s_delay_alu instid0(VALU_DEP_1) | instskip(NEXT) | instid1(VALU_DEP_1)
	v_dual_fma_f32 v13, -v11, v9, v4 :: v_dual_cndmask_b32 v9, v9, v10, s1
	v_cmp_lt_f32_e64 s1, 0, v13
	s_delay_alu instid0(VALU_DEP_1) | instskip(NEXT) | instid1(VALU_DEP_1)
	v_cndmask_b32_e64 v9, v9, v11, s1
	v_mul_f32_e32 v10, 0x37800000, v9
	s_delay_alu instid0(VALU_DEP_1) | instskip(SKIP_1) | instid1(VALU_DEP_2)
	v_cndmask_b32_e32 v9, v9, v10, vcc_lo
	v_cmp_class_f32_e64 vcc_lo, v4, 0x260
	v_cndmask_b32_e32 v4, v9, v4, vcc_lo
	s_delay_alu instid0(VALU_DEP_1)
	v_mul_f32_e32 v9, v5, v4
.LBB15_87:                              ;   in Loop: Header=BB15_81 Depth=1
	s_or_b32 exec_lo, exec_lo, s23
                                        ; implicit-def: $vgpr4
                                        ; implicit-def: $vgpr5
.LBB15_88:                              ;   in Loop: Header=BB15_81 Depth=1
	s_and_not1_saveexec_b32 s22, s22
	s_cbranch_execz .LBB15_90
; %bb.89:                               ;   in Loop: Header=BB15_81 Depth=1
	v_div_scale_f32 v9, null, v4, v4, v5
	v_div_scale_f32 v12, vcc_lo, v5, v4, v5
	s_delay_alu instid0(VALU_DEP_2) | instskip(SKIP_1) | instid1(TRANS32_DEP_1)
	v_rcp_f32_e32 v10, v9
	v_nop
	v_fma_f32 v11, -v9, v10, 1.0
	s_delay_alu instid0(VALU_DEP_1) | instskip(NEXT) | instid1(VALU_DEP_1)
	v_fmac_f32_e32 v10, v11, v10
	v_mul_f32_e32 v11, v12, v10
	s_delay_alu instid0(VALU_DEP_1) | instskip(NEXT) | instid1(VALU_DEP_1)
	v_fma_f32 v13, -v9, v11, v12
	v_fmac_f32_e32 v11, v13, v10
	s_delay_alu instid0(VALU_DEP_1) | instskip(NEXT) | instid1(VALU_DEP_1)
	v_fma_f32 v9, -v9, v11, v12
	v_div_fmas_f32 v9, v9, v10, v11
	s_delay_alu instid0(VALU_DEP_1) | instskip(NEXT) | instid1(VALU_DEP_1)
	v_div_fixup_f32 v5, v9, v4, v5
	v_fma_f32 v5, v5, v5, 1.0
	s_delay_alu instid0(VALU_DEP_1) | instskip(SKIP_1) | instid1(VALU_DEP_2)
	v_mul_f32_e32 v9, 0x4f800000, v5
	v_cmp_gt_f32_e32 vcc_lo, 0xf800000, v5
	v_cndmask_b32_e32 v5, v5, v9, vcc_lo
	s_delay_alu instid0(VALU_DEP_1) | instskip(SKIP_1) | instid1(TRANS32_DEP_1)
	v_sqrt_f32_e32 v9, v5
	v_nop
	v_dual_add_nc_u32 v10, -1, v9 :: v_dual_add_nc_u32 v11, 1, v9
	s_delay_alu instid0(VALU_DEP_1) | instskip(NEXT) | instid1(VALU_DEP_1)
	v_fma_f32 v12, -v10, v9, v5
	v_cmp_ge_f32_e64 s1, 0, v12
	s_delay_alu instid0(VALU_DEP_1) | instskip(NEXT) | instid1(VALU_DEP_1)
	v_dual_fma_f32 v13, -v11, v9, v5 :: v_dual_cndmask_b32 v9, v9, v10, s1
	v_cmp_lt_f32_e64 s1, 0, v13
	s_delay_alu instid0(VALU_DEP_1) | instskip(NEXT) | instid1(VALU_DEP_1)
	v_cndmask_b32_e64 v9, v9, v11, s1
	v_mul_f32_e32 v10, 0x37800000, v9
	s_delay_alu instid0(VALU_DEP_1) | instskip(SKIP_1) | instid1(VALU_DEP_2)
	v_cndmask_b32_e32 v9, v9, v10, vcc_lo
	v_cmp_class_f32_e64 vcc_lo, v5, 0x260
	v_cndmask_b32_e32 v5, v9, v5, vcc_lo
	s_delay_alu instid0(VALU_DEP_1)
	v_mul_f32_e32 v9, v4, v5
.LBB15_90:                              ;   in Loop: Header=BB15_81 Depth=1
	s_or_b32 exec_lo, exec_lo, s22
	s_delay_alu instid0(VALU_DEP_1) | instskip(NEXT) | instid1(VALU_DEP_1)
	v_cvt_f64_f32_e32 v[4:5], v9
	v_cmp_ge_f64_e32 vcc_lo, v[0:1], v[4:5]
	v_cndmask_b32_e64 v4, v7, s27, vcc_lo
	v_cndmask_b32_e64 v5, v6, s26, vcc_lo
	s_and_saveexec_b32 s1, s0
	s_cbranch_execz .LBB15_92
; %bb.91:                               ;   in Loop: Header=BB15_81 Depth=1
	s_delay_alu instid0(VALU_DEP_1) | instskip(SKIP_1) | instid1(VALU_DEP_2)
	v_dual_mov_b32 v10, v5 :: v_dual_ashrrev_i32 v9, 31, v8
	v_mov_b32_e32 v11, v4
	v_lshl_add_u64 v[8:9], v[8:9], 3, s[12:13]
	global_store_b64 v[8:9], v[10:11], off
.LBB15_92:                              ;   in Loop: Header=BB15_81 Depth=1
	s_wait_xcnt 0x0
	s_or_b32 exec_lo, exec_lo, s1
	s_mov_b32 s1, -1
	s_branch .LBB15_83
.LBB15_93:                              ;   in Loop: Header=BB15_81 Depth=1
	s_wait_loadcnt 0x0
	v_bitop3_b32 v4, v6, 0x7fffffff, v7 bitop3:0xc8
	s_and_not1_b32 s1, s1, exec_lo
	s_mov_b32 s17, -1
	v_mov_b32_e32 v5, v6
	s_delay_alu instid0(VALU_DEP_2) | instskip(SKIP_2) | instid1(SALU_CYCLE_1)
	v_cmp_ne_u32_e32 vcc_lo, 0, v4
	v_mov_b32_e32 v4, v7
	s_and_b32 s22, vcc_lo, exec_lo
	s_or_b32 s1, s1, s22
                                        ; implicit-def: $vgpr27
	s_wait_xcnt 0x0
	s_and_saveexec_b32 s22, s1
	s_delay_alu instid0(SALU_CYCLE_1)
	s_xor_b32 s22, exec_lo, s22
	s_cbranch_execz .LBB15_115
.LBB15_94:                              ;   in Loop: Header=BB15_81 Depth=1
	v_add_nc_u32_e32 v27, 1, v21
	s_mov_b32 s23, exec_lo
	s_delay_alu instid0(VALU_DEP_1) | instskip(NEXT) | instid1(VALU_DEP_1)
	v_add_nc_u32_e32 v28, v27, v22
	v_cmpx_gt_i32_e64 s7, v28
	s_cbranch_execz .LBB15_114
; %bb.95:                               ;   in Loop: Header=BB15_81 Depth=1
	s_wait_loadcnt 0x0
	v_mul_f32_e32 v6, v4, v4
	v_cmp_gt_i32_e64 s1, s7, v27
	s_mov_b32 s25, 0
	v_dual_mov_b32 v29, v20 :: v_dual_fmac_f32 v6, v5, v5
	s_delay_alu instid0(VALU_DEP_1) | instskip(SKIP_1) | instid1(VALU_DEP_2)
	v_div_scale_f32 v7, null, v6, v6, 1.0
	v_div_scale_f32 v10, vcc_lo, 1.0, v6, 1.0
	v_rcp_f32_e32 v8, v7
	v_nop
	s_delay_alu instid0(TRANS32_DEP_1) | instskip(NEXT) | instid1(VALU_DEP_1)
	v_fma_f32 v9, -v7, v8, 1.0
	v_fmac_f32_e32 v8, v9, v8
	s_delay_alu instid0(VALU_DEP_1) | instskip(NEXT) | instid1(VALU_DEP_1)
	v_mul_f32_e32 v9, v10, v8
	v_fma_f32 v11, -v7, v9, v10
	s_delay_alu instid0(VALU_DEP_1) | instskip(NEXT) | instid1(VALU_DEP_1)
	v_fmac_f32_e32 v9, v11, v8
	v_fma_f32 v7, -v7, v9, v10
	s_delay_alu instid0(VALU_DEP_1) | instskip(SKIP_2) | instid1(VALU_DEP_3)
	v_div_fmas_f32 v7, v7, v8, v9
	v_dual_mov_b32 v8, v4 :: v_dual_mov_b32 v9, v4
	v_mov_b32_e32 v4, v5
	v_div_fixup_f32 v6, v7, v6, 1.0
	s_delay_alu instid0(VALU_DEP_1)
	v_mov_b32_e32 v7, v6
	s_branch .LBB15_97
.LBB15_96:                              ;   in Loop: Header=BB15_97 Depth=2
	s_wait_xcnt 0x0
	s_or_b32 exec_lo, exec_lo, s28
	v_dual_add_nc_u32 v28, 32, v28 :: v_dual_add_nc_u32 v29, s11, v29
	s_delay_alu instid0(VALU_DEP_1) | instskip(SKIP_1) | instid1(SALU_CYCLE_1)
	v_cmp_le_i32_e32 vcc_lo, s7, v28
	s_or_b32 s25, vcc_lo, s25
	s_and_not1_b32 exec_lo, exec_lo, s25
	s_cbranch_execz .LBB15_114
.LBB15_97:                              ;   Parent Loop BB15_81 Depth=1
                                        ; =>  This Loop Header: Depth=2
                                        ;       Child Loop BB15_106 Depth 3
	v_add_nc_u32_e32 v12, v28, v26
	s_and_b32 vcc_lo, exec_lo, s9
	s_cbranch_vccz .LBB15_112
; %bb.98:                               ;   in Loop: Header=BB15_97 Depth=2
	v_add_nc_u32_e32 v10, v28, v26
	s_cbranch_execnz .LBB15_100
.LBB15_99:                              ;   in Loop: Header=BB15_97 Depth=2
	v_add_nc_u32_e32 v10, v28, v18
	s_delay_alu instid0(VALU_DEP_1)
	v_mad_u32 v10, v10, s7, v21
.LBB15_100:                             ;   in Loop: Header=BB15_97 Depth=2
	global_load_b64 v[10:11], v10, s[12:13] scale_offset
	s_and_b32 vcc_lo, exec_lo, s9
	s_cbranch_vccz .LBB15_113
; %bb.101:                              ;   in Loop: Header=BB15_97 Depth=2
	s_cbranch_execnz .LBB15_103
.LBB15_102:                             ;   in Loop: Header=BB15_97 Depth=2
	v_add_nc_u32_e32 v12, v28, v18
	s_delay_alu instid0(VALU_DEP_1)
	v_mad_u32 v12, v12, s7, v21
.LBB15_103:                             ;   in Loop: Header=BB15_97 Depth=2
	s_wait_loadcnt 0x0
	v_pk_mul_f32 v[14:15], v[8:9], v[10:11] op_sel:[0,1] op_sel_hi:[1,0] neg_hi:[0,1]
	s_wait_xcnt 0x0
	s_delay_alu instid0(VALU_DEP_1) | instskip(NEXT) | instid1(VALU_DEP_1)
	v_pk_fma_f32 v[10:11], v[10:11], v[4:5], v[14:15]
	v_pk_mul_f32 v[10:11], v[6:7], v[10:11]
	global_store_b64 v12, v[10:11], s[12:13] scale_offset
	s_wait_xcnt 0x0
	s_and_saveexec_b32 s28, s1
	s_cbranch_execz .LBB15_96
; %bb.104:                              ;   in Loop: Header=BB15_97 Depth=2
	v_xor_b32_e32 v13, 0x80000000, v10
	v_dual_mov_b32 v12, v11 :: v_dual_mov_b32 v30, v29
	v_dual_mov_b32 v31, v19 :: v_dual_mov_b32 v32, v27
	s_mov_b32 s29, s14
	s_branch .LBB15_106
.LBB15_105:                             ;   in Loop: Header=BB15_106 Depth=3
	s_wait_loadcnt 0x0
	v_pk_fma_f32 v[16:17], v[10:11], v[14:15], v[16:17] op_sel_hi:[1,0,1] neg_lo:[1,0,0] neg_hi:[1,0,0]
	v_dual_add_nc_u32 v32, 1, v32 :: v_dual_add_nc_u32 v31, 1, v31
	v_add_nc_u32_e32 v30, 1, v30
	s_add_co_i32 s29, s29, -1
	s_delay_alu instid0(VALU_DEP_3)
	v_pk_fma_f32 v[14:15], v[12:13], v[14:15], v[16:17] op_sel:[0,1,0]
	s_cmp_eq_u32 s29, 0
	global_store_b64 v34, v[14:15], s[12:13] scale_offset
	s_cbranch_scc1 .LBB15_96
.LBB15_106:                             ;   Parent Loop BB15_81 Depth=1
                                        ;     Parent Loop BB15_97 Depth=2
                                        ; =>    This Inner Loop Header: Depth=3
	s_wait_xcnt 0x0
	s_delay_alu instid0(VALU_DEP_1)
	v_dual_add_nc_u32 v16, v32, v18 :: v_dual_mov_b32 v14, v31
	s_and_not1_b32 vcc_lo, exec_lo, s9
	s_cbranch_vccnz .LBB15_108
; %bb.107:                              ;   in Loop: Header=BB15_106 Depth=3
	s_delay_alu instid0(VALU_DEP_1)
	v_mad_u32 v14, v16, s7, v21
.LBB15_108:                             ;   in Loop: Header=BB15_106 Depth=3
	global_load_b64 v[14:15], v14, s[12:13] scale_offset
	v_mad_u32 v33, v16, s7, v28
	v_mov_b32_e32 v17, v30
	s_and_not1_b32 vcc_lo, exec_lo, s9
	s_cbranch_vccnz .LBB15_110
; %bb.109:                              ;   in Loop: Header=BB15_106 Depth=3
	v_mad_u32 v17, v16, s7, v28
.LBB15_110:                             ;   in Loop: Header=BB15_106 Depth=3
	global_load_b64 v[16:17], v17, s[12:13] scale_offset
	v_mov_b32_e32 v34, v30
	s_and_not1_b32 vcc_lo, exec_lo, s9
	s_cbranch_vccnz .LBB15_105
; %bb.111:                              ;   in Loop: Header=BB15_106 Depth=3
	v_mov_b32_e32 v34, v33
	s_branch .LBB15_105
.LBB15_112:                             ;   in Loop: Header=BB15_97 Depth=2
                                        ; implicit-def: $vgpr10
	s_branch .LBB15_99
.LBB15_113:                             ;   in Loop: Header=BB15_97 Depth=2
                                        ; implicit-def: $vgpr12
	s_branch .LBB15_102
.LBB15_114:                             ;   in Loop: Header=BB15_81 Depth=1
	s_or_b32 exec_lo, exec_lo, s23
	s_delay_alu instid0(SALU_CYCLE_1)
	s_and_not1_b32 s17, s17, exec_lo
.LBB15_115:                             ;   in Loop: Header=BB15_81 Depth=1
	s_or_b32 exec_lo, exec_lo, s22
	s_delay_alu instid0(SALU_CYCLE_1) | instskip(SKIP_1) | instid1(SALU_CYCLE_1)
	s_and_not1_b32 s1, s16, exec_lo
	s_and_b32 s16, s16, exec_lo
	s_or_b32 s16, s1, s16
	s_and_saveexec_b32 s1, s17
	s_cbranch_execz .LBB15_80
; %bb.116:                              ;   in Loop: Header=BB15_81 Depth=1
	v_add_nc_u32_e32 v27, 1, v21
	s_or_b32 s16, s16, exec_lo
	s_branch .LBB15_80
.LBB15_117:
	s_or_b32 exec_lo, exec_lo, s8
	s_delay_alu instid0(SALU_CYCLE_1) | instskip(SKIP_1) | instid1(SALU_CYCLE_1)
	s_and_not1_b32 s0, s2, exec_lo
	s_and_b32 s1, s15, exec_lo
	s_or_b32 s2, s0, s1
.LBB15_118:
	s_or_b32 exec_lo, exec_lo, s4
	s_wait_dscnt 0x0
	v_add_nc_u32_e32 v8, 1, v25
	s_mov_b32 s1, exec_lo
	s_delay_alu instid0(VALU_DEP_1)
	v_cmpx_lt_i32_e64 v8, v23
	s_cbranch_execz .LBB15_142
; %bb.119:
	v_mul_lo_u32 v9, v25, s7
	s_mul_i32 s4, s7, s7
	v_cmp_gt_i32_e64 s0, s7, v22
	v_mul_lo_u32 v0, s4, v8
	s_cmp_lg_u32 s24, 0
	s_mov_b32 s8, 0
	s_cselect_b32 s9, -1, 0
	s_add_co_i32 s10, s7, 1
	s_add_co_i32 s11, s7, -1
	v_mad_u32 v10, s7, v9, s7
	s_delay_alu instid0(VALU_DEP_2)
	v_add3_u32 v11, v0, s7, v22
	s_branch .LBB15_121
.LBB15_120:                             ;   in Loop: Header=BB15_121 Depth=1
	s_delay_alu instid0(VALU_DEP_1) | instskip(NEXT) | instid1(VALU_DEP_1)
	v_dual_add_nc_u32 v8, 1, v8 :: v_dual_add_nc_u32 v11, s4, v11
	v_cmp_ge_i32_e32 vcc_lo, v8, v23
	s_or_b32 s8, vcc_lo, s8
	s_delay_alu instid0(SALU_CYCLE_1)
	s_and_not1_b32 exec_lo, exec_lo, s8
	s_cbranch_execz .LBB15_142
.LBB15_121:                             ; =>This Loop Header: Depth=1
                                        ;     Child Loop BB15_124 Depth 2
                                        ;       Child Loop BB15_127 Depth 3
                                        ;         Child Loop BB15_130 Depth 4
	s_and_not1_b32 vcc_lo, exec_lo, s3
	s_cbranch_vccnz .LBB15_120
; %bb.122:                              ;   in Loop: Header=BB15_121 Depth=1
	v_mul_lo_u32 v12, v8, s7
	s_delay_alu instid0(VALU_DEP_3)
	v_dual_mov_b32 v13, v11 :: v_dual_mov_b32 v14, v10
	s_mov_b32 s15, 0
	s_mov_b32 s14, s11
	s_branch .LBB15_124
.LBB15_123:                             ;   in Loop: Header=BB15_124 Depth=2
	s_or_b32 exec_lo, exec_lo, s17
	v_dual_add_nc_u32 v14, s10, v14 :: v_dual_add_nc_u32 v13, s7, v13
	s_add_co_i32 s14, s14, -1
	s_cmp_eq_u32 s16, s7
	s_mov_b32 s15, s16
	s_cbranch_scc1 .LBB15_120
.LBB15_124:                             ;   Parent Loop BB15_121 Depth=1
                                        ; =>  This Loop Header: Depth=2
                                        ;       Child Loop BB15_127 Depth 3
                                        ;         Child Loop BB15_130 Depth 4
	s_add_co_i32 s16, s15, 1
	s_and_saveexec_b32 s17, s0
	s_cbranch_execz .LBB15_123
; %bb.125:                              ;   in Loop: Header=BB15_124 Depth=2
	s_delay_alu instid0(VALU_DEP_2) | instskip(SKIP_2) | instid1(VALU_DEP_2)
	v_dual_add_nc_u32 v0, s15, v9 :: v_dual_add_nc_u32 v1, s15, v12
	v_dual_mov_b32 v17, v13 :: v_dual_mov_b32 v18, v22
	s_cmp_lt_i32 s16, s7
	v_mul_lo_u32 v15, v0, s7
	s_delay_alu instid0(VALU_DEP_3)
	v_mul_lo_u32 v16, v1, s7
	s_cselect_b32 s22, -1, 0
	s_mov_b32 s23, 0
	s_branch .LBB15_127
.LBB15_126:                             ;   in Loop: Header=BB15_127 Depth=3
	v_dual_add_nc_u32 v18, 32, v18 :: v_dual_add_nc_u32 v17, 32, v17
	s_delay_alu instid0(VALU_DEP_1)
	v_cmp_le_i32_e32 vcc_lo, s7, v18
	s_or_b32 s23, vcc_lo, s23
	s_wait_xcnt 0x0
	s_and_not1_b32 exec_lo, exec_lo, s23
	s_cbranch_execz .LBB15_123
.LBB15_127:                             ;   Parent Loop BB15_121 Depth=1
                                        ;     Parent Loop BB15_124 Depth=2
                                        ; =>    This Loop Header: Depth=3
                                        ;         Child Loop BB15_130 Depth 4
	s_and_not1_b32 vcc_lo, exec_lo, s22
	s_cbranch_vccnz .LBB15_126
; %bb.128:                              ;   in Loop: Header=BB15_127 Depth=3
	v_add_nc_u32_e32 v0, v18, v12
	s_delay_alu instid0(VALU_DEP_2) | instskip(SKIP_4) | instid1(VALU_DEP_1)
	v_add_nc_u32_e32 v21, v18, v16
	s_mov_b32 s24, 0
	s_mov_b32 s25, s14
	;; [unrolled: 1-line block ×3, first 2 shown]
	v_mul_lo_u32 v19, v0, s7
	v_add_nc_u32_e32 v20, s15, v19
	s_branch .LBB15_130
.LBB15_129:                             ;   in Loop: Header=BB15_130 Depth=4
	s_wait_loadcnt 0x0
	v_pk_fma_f32 v[6:7], v[0:1], v[4:5], v[6:7] op_sel_hi:[1,0,1] neg_lo:[1,0,0] neg_hi:[1,0,0]
	s_add_co_i32 s25, s25, -1
	s_add_co_i32 s26, s26, 1
	s_add_co_i32 s24, s24, s7
	s_cmp_eq_u32 s25, 0
	v_pk_fma_f32 v[0:1], v[0:1], v[4:5], v[6:7] op_sel:[1,1,0] op_sel_hi:[0,1,1] neg_hi:[1,0,0]
	global_store_b64 v24, v[0:1], s[12:13] scale_offset
	s_cbranch_scc1 .LBB15_126
.LBB15_130:                             ;   Parent Loop BB15_121 Depth=1
                                        ;     Parent Loop BB15_124 Depth=2
                                        ;       Parent Loop BB15_127 Depth=3
                                        ; =>      This Inner Loop Header: Depth=4
	s_and_b32 vcc_lo, exec_lo, s9
	s_cbranch_vccz .LBB15_138
; %bb.131:                              ;   in Loop: Header=BB15_130 Depth=4
	s_wait_loadcnt 0x0
	v_add_nc_u32_e32 v6, s26, v15
	v_mov_b32_e32 v7, v20
	s_cbranch_execnz .LBB15_133
.LBB15_132:                             ;   in Loop: Header=BB15_130 Depth=4
	v_dual_mov_b32 v7, v21 :: v_dual_add_nc_u32 v6, s24, v14
.LBB15_133:                             ;   in Loop: Header=BB15_130 Depth=4
	s_clause 0x1
	global_load_b64 v[0:1], v6, s[12:13] scale_offset
	global_load_b64 v[4:5], v7, s[12:13] scale_offset
	v_add_nc_u32_e32 v24, s26, v19
	s_and_b32 vcc_lo, exec_lo, s9
	s_cbranch_vccz .LBB15_139
; %bb.134:                              ;   in Loop: Header=BB15_130 Depth=4
	s_wait_xcnt 0x1
	v_add_nc_u32_e32 v6, s26, v19
	v_add_nc_u32_e32 v25, s24, v17
	s_cbranch_execnz .LBB15_136
.LBB15_135:                             ;   in Loop: Header=BB15_130 Depth=4
	s_wait_xcnt 0x1
	v_add_nc_u32_e32 v6, s24, v17
.LBB15_136:                             ;   in Loop: Header=BB15_130 Depth=4
	global_load_b64 v[6:7], v6, s[12:13] scale_offset
	s_and_b32 vcc_lo, exec_lo, s9
	s_cbranch_vccz .LBB15_140
; %bb.137:                              ;   in Loop: Header=BB15_130 Depth=4
	s_cbranch_execnz .LBB15_129
	s_branch .LBB15_141
.LBB15_138:                             ;   in Loop: Header=BB15_130 Depth=4
                                        ; implicit-def: $vgpr6
	s_wait_loadcnt 0x0
	v_mov_b32_e32 v7, v20
	s_branch .LBB15_132
.LBB15_139:                             ;   in Loop: Header=BB15_130 Depth=4
                                        ; implicit-def: $vgpr6
	v_add_nc_u32_e32 v25, s24, v17
	s_branch .LBB15_135
.LBB15_140:                             ;   in Loop: Header=BB15_130 Depth=4
                                        ; implicit-def: $vgpr24
.LBB15_141:                             ;   in Loop: Header=BB15_130 Depth=4
	v_mov_b32_e32 v24, v25
	s_branch .LBB15_129
.LBB15_142:
	s_or_b32 exec_lo, exec_lo, s1
	s_delay_alu instid0(SALU_CYCLE_1)
	s_or_not1_b32 s2, s2, exec_lo
.LBB15_143:
	s_or_b32 exec_lo, exec_lo, s5
	v_cmp_eq_u32_e32 vcc_lo, 0, v22
	s_and_b32 exec_lo, exec_lo, vcc_lo
	s_cbranch_execz .LBB15_149
; %bb.144:
	v_lshl_add_u64 v[0:1], v[2:3], 2, s[20:21]
	v_mov_b32_e32 v3, 1
	global_wb scope:SCOPE_DEV
	s_wait_storecnt 0x0
	s_wait_loadcnt_dscnt 0x0
	global_store_b32 v[0:1], v3, off scope:SCOPE_DEV
	s_wait_xcnt 0x0
	s_and_b32 exec_lo, exec_lo, s2
	s_cbranch_execz .LBB15_149
; %bb.145:
	v_add_nc_u32_e32 v0, s6, v2
	s_mov_b32 s1, exec_lo
	s_brev_b32 s0, -2
.LBB15_146:                             ; =>This Inner Loop Header: Depth=1
	s_ctz_i32_b32 s2, s1
	s_delay_alu instid0(VALU_DEP_1) | instid1(SALU_CYCLE_1)
	v_readlane_b32 s3, v0, s2
	s_lshl_b32 s2, 1, s2
	s_delay_alu instid0(SALU_CYCLE_1)
	s_and_not1_b32 s1, s1, s2
	s_min_i32 s0, s0, s3
	s_cmp_lg_u32 s1, 0
	s_cbranch_scc1 .LBB15_146
; %bb.147:
	v_mbcnt_lo_u32_b32 v0, exec_lo, 0
	s_mov_b32 s1, exec_lo
	s_delay_alu instid0(VALU_DEP_1)
	v_cmpx_eq_u32_e32 0, v0
	s_xor_b32 s1, exec_lo, s1
	s_cbranch_execz .LBB15_149
; %bb.148:
	v_dual_mov_b32 v0, 0 :: v_dual_mov_b32 v1, s0
	global_atomic_min_i32 v0, v1, s[18:19] scope:SCOPE_DEV
.LBB15_149:
	s_endpgm
	.section	.rodata,"a",@progbits
	.p2align	6, 0x0
	.amdhsa_kernel _ZN9rocsparseL15bsrilu0_generalILj128ELj32ELb0E21rocsparse_complex_numIfEEEv20rocsparse_direction_iPKiS5_PT2_S5_iPiS5_S8_21rocsparse_index_base_imNS_24const_host_device_scalarIfEENSA_IdEENSA_IS6_EEb
		.amdhsa_group_segment_fixed_size 0
		.amdhsa_private_segment_fixed_size 0
		.amdhsa_kernarg_size 116
		.amdhsa_user_sgpr_count 2
		.amdhsa_user_sgpr_dispatch_ptr 0
		.amdhsa_user_sgpr_queue_ptr 0
		.amdhsa_user_sgpr_kernarg_segment_ptr 1
		.amdhsa_user_sgpr_dispatch_id 0
		.amdhsa_user_sgpr_kernarg_preload_length 0
		.amdhsa_user_sgpr_kernarg_preload_offset 0
		.amdhsa_user_sgpr_private_segment_size 0
		.amdhsa_wavefront_size32 1
		.amdhsa_uses_dynamic_stack 0
		.amdhsa_enable_private_segment 0
		.amdhsa_system_sgpr_workgroup_id_x 1
		.amdhsa_system_sgpr_workgroup_id_y 0
		.amdhsa_system_sgpr_workgroup_id_z 0
		.amdhsa_system_sgpr_workgroup_info 0
		.amdhsa_system_vgpr_workitem_id 0
		.amdhsa_next_free_vgpr 44
		.amdhsa_next_free_sgpr 46
		.amdhsa_named_barrier_count 0
		.amdhsa_reserve_vcc 1
		.amdhsa_float_round_mode_32 0
		.amdhsa_float_round_mode_16_64 0
		.amdhsa_float_denorm_mode_32 3
		.amdhsa_float_denorm_mode_16_64 3
		.amdhsa_fp16_overflow 0
		.amdhsa_memory_ordered 1
		.amdhsa_forward_progress 1
		.amdhsa_inst_pref_size 38
		.amdhsa_round_robin_scheduling 0
		.amdhsa_exception_fp_ieee_invalid_op 0
		.amdhsa_exception_fp_denorm_src 0
		.amdhsa_exception_fp_ieee_div_zero 0
		.amdhsa_exception_fp_ieee_overflow 0
		.amdhsa_exception_fp_ieee_underflow 0
		.amdhsa_exception_fp_ieee_inexact 0
		.amdhsa_exception_int_div_zero 0
	.end_amdhsa_kernel
	.section	.text._ZN9rocsparseL15bsrilu0_generalILj128ELj32ELb0E21rocsparse_complex_numIfEEEv20rocsparse_direction_iPKiS5_PT2_S5_iPiS5_S8_21rocsparse_index_base_imNS_24const_host_device_scalarIfEENSA_IdEENSA_IS6_EEb,"axG",@progbits,_ZN9rocsparseL15bsrilu0_generalILj128ELj32ELb0E21rocsparse_complex_numIfEEEv20rocsparse_direction_iPKiS5_PT2_S5_iPiS5_S8_21rocsparse_index_base_imNS_24const_host_device_scalarIfEENSA_IdEENSA_IS6_EEb,comdat
.Lfunc_end15:
	.size	_ZN9rocsparseL15bsrilu0_generalILj128ELj32ELb0E21rocsparse_complex_numIfEEEv20rocsparse_direction_iPKiS5_PT2_S5_iPiS5_S8_21rocsparse_index_base_imNS_24const_host_device_scalarIfEENSA_IdEENSA_IS6_EEb, .Lfunc_end15-_ZN9rocsparseL15bsrilu0_generalILj128ELj32ELb0E21rocsparse_complex_numIfEEEv20rocsparse_direction_iPKiS5_PT2_S5_iPiS5_S8_21rocsparse_index_base_imNS_24const_host_device_scalarIfEENSA_IdEENSA_IS6_EEb
                                        ; -- End function
	.set _ZN9rocsparseL15bsrilu0_generalILj128ELj32ELb0E21rocsparse_complex_numIfEEEv20rocsparse_direction_iPKiS5_PT2_S5_iPiS5_S8_21rocsparse_index_base_imNS_24const_host_device_scalarIfEENSA_IdEENSA_IS6_EEb.num_vgpr, 44
	.set _ZN9rocsparseL15bsrilu0_generalILj128ELj32ELb0E21rocsparse_complex_numIfEEEv20rocsparse_direction_iPKiS5_PT2_S5_iPiS5_S8_21rocsparse_index_base_imNS_24const_host_device_scalarIfEENSA_IdEENSA_IS6_EEb.num_agpr, 0
	.set _ZN9rocsparseL15bsrilu0_generalILj128ELj32ELb0E21rocsparse_complex_numIfEEEv20rocsparse_direction_iPKiS5_PT2_S5_iPiS5_S8_21rocsparse_index_base_imNS_24const_host_device_scalarIfEENSA_IdEENSA_IS6_EEb.numbered_sgpr, 46
	.set _ZN9rocsparseL15bsrilu0_generalILj128ELj32ELb0E21rocsparse_complex_numIfEEEv20rocsparse_direction_iPKiS5_PT2_S5_iPiS5_S8_21rocsparse_index_base_imNS_24const_host_device_scalarIfEENSA_IdEENSA_IS6_EEb.num_named_barrier, 0
	.set _ZN9rocsparseL15bsrilu0_generalILj128ELj32ELb0E21rocsparse_complex_numIfEEEv20rocsparse_direction_iPKiS5_PT2_S5_iPiS5_S8_21rocsparse_index_base_imNS_24const_host_device_scalarIfEENSA_IdEENSA_IS6_EEb.private_seg_size, 0
	.set _ZN9rocsparseL15bsrilu0_generalILj128ELj32ELb0E21rocsparse_complex_numIfEEEv20rocsparse_direction_iPKiS5_PT2_S5_iPiS5_S8_21rocsparse_index_base_imNS_24const_host_device_scalarIfEENSA_IdEENSA_IS6_EEb.uses_vcc, 1
	.set _ZN9rocsparseL15bsrilu0_generalILj128ELj32ELb0E21rocsparse_complex_numIfEEEv20rocsparse_direction_iPKiS5_PT2_S5_iPiS5_S8_21rocsparse_index_base_imNS_24const_host_device_scalarIfEENSA_IdEENSA_IS6_EEb.uses_flat_scratch, 0
	.set _ZN9rocsparseL15bsrilu0_generalILj128ELj32ELb0E21rocsparse_complex_numIfEEEv20rocsparse_direction_iPKiS5_PT2_S5_iPiS5_S8_21rocsparse_index_base_imNS_24const_host_device_scalarIfEENSA_IdEENSA_IS6_EEb.has_dyn_sized_stack, 0
	.set _ZN9rocsparseL15bsrilu0_generalILj128ELj32ELb0E21rocsparse_complex_numIfEEEv20rocsparse_direction_iPKiS5_PT2_S5_iPiS5_S8_21rocsparse_index_base_imNS_24const_host_device_scalarIfEENSA_IdEENSA_IS6_EEb.has_recursion, 0
	.set _ZN9rocsparseL15bsrilu0_generalILj128ELj32ELb0E21rocsparse_complex_numIfEEEv20rocsparse_direction_iPKiS5_PT2_S5_iPiS5_S8_21rocsparse_index_base_imNS_24const_host_device_scalarIfEENSA_IdEENSA_IS6_EEb.has_indirect_call, 0
	.section	.AMDGPU.csdata,"",@progbits
; Kernel info:
; codeLenInByte = 4788
; TotalNumSgprs: 48
; NumVgprs: 44
; ScratchSize: 0
; MemoryBound: 0
; FloatMode: 240
; IeeeMode: 1
; LDSByteSize: 0 bytes/workgroup (compile time only)
; SGPRBlocks: 0
; VGPRBlocks: 2
; NumSGPRsForWavesPerEU: 48
; NumVGPRsForWavesPerEU: 44
; NamedBarCnt: 0
; Occupancy: 16
; WaveLimiterHint : 1
; COMPUTE_PGM_RSRC2:SCRATCH_EN: 0
; COMPUTE_PGM_RSRC2:USER_SGPR: 2
; COMPUTE_PGM_RSRC2:TRAP_HANDLER: 0
; COMPUTE_PGM_RSRC2:TGID_X_EN: 1
; COMPUTE_PGM_RSRC2:TGID_Y_EN: 0
; COMPUTE_PGM_RSRC2:TGID_Z_EN: 0
; COMPUTE_PGM_RSRC2:TIDIG_COMP_CNT: 0
	.section	.text._ZN9rocsparseL11bsrilu0_2_8ILj64ELj64ELj8E21rocsparse_complex_numIfEEEv20rocsparse_direction_iPKiS5_PT2_S5_iPiS5_S8_21rocsparse_index_base_imNS_24const_host_device_scalarIfEENSA_IdEENSA_IS6_EEb,"axG",@progbits,_ZN9rocsparseL11bsrilu0_2_8ILj64ELj64ELj8E21rocsparse_complex_numIfEEEv20rocsparse_direction_iPKiS5_PT2_S5_iPiS5_S8_21rocsparse_index_base_imNS_24const_host_device_scalarIfEENSA_IdEENSA_IS6_EEb,comdat
	.globl	_ZN9rocsparseL11bsrilu0_2_8ILj64ELj64ELj8E21rocsparse_complex_numIfEEEv20rocsparse_direction_iPKiS5_PT2_S5_iPiS5_S8_21rocsparse_index_base_imNS_24const_host_device_scalarIfEENSA_IdEENSA_IS6_EEb ; -- Begin function _ZN9rocsparseL11bsrilu0_2_8ILj64ELj64ELj8E21rocsparse_complex_numIfEEEv20rocsparse_direction_iPKiS5_PT2_S5_iPiS5_S8_21rocsparse_index_base_imNS_24const_host_device_scalarIfEENSA_IdEENSA_IS6_EEb
	.p2align	8
	.type	_ZN9rocsparseL11bsrilu0_2_8ILj64ELj64ELj8E21rocsparse_complex_numIfEEEv20rocsparse_direction_iPKiS5_PT2_S5_iPiS5_S8_21rocsparse_index_base_imNS_24const_host_device_scalarIfEENSA_IdEENSA_IS6_EEb,@function
_ZN9rocsparseL11bsrilu0_2_8ILj64ELj64ELj8E21rocsparse_complex_numIfEEEv20rocsparse_direction_iPKiS5_PT2_S5_iPiS5_S8_21rocsparse_index_base_imNS_24const_host_device_scalarIfEENSA_IdEENSA_IS6_EEb: ; @_ZN9rocsparseL11bsrilu0_2_8ILj64ELj64ELj8E21rocsparse_complex_numIfEEEv20rocsparse_direction_iPKiS5_PT2_S5_iPiS5_S8_21rocsparse_index_base_imNS_24const_host_device_scalarIfEENSA_IdEENSA_IS6_EEb
; %bb.0:
	s_clause 0x2
	s_load_b32 s2, s[0:1], 0x70
	s_load_b64 s[20:21], s[0:1], 0x48
	s_load_b256 s[12:19], s[0:1], 0x50
	s_wait_kmcnt 0x0
	s_bitcmp1_b32 s2, 0
	s_cselect_b32 s4, -1, 0
	s_cmp_eq_u32 s21, 0
	s_cselect_b32 s2, -1, 0
	s_cmp_lg_u32 s21, 0
	s_cselect_b32 s5, -1, 0
	s_or_b32 s7, s2, s4
	s_delay_alu instid0(SALU_CYCLE_1)
	s_xor_b32 s6, s7, -1
	s_and_b32 s2, s2, exec_lo
	s_cselect_b32 s3, 0, s17
	s_cselect_b32 s2, 0, s16
	;; [unrolled: 1-line block ×3, first 2 shown]
	s_and_b32 vcc_lo, exec_lo, s7
	s_cbranch_vccnz .LBB16_2
; %bb.1:
	s_load_b32 s35, s[14:15], 0x0
	s_mov_b64 s[2:3], s[16:17]
.LBB16_2:
	s_delay_alu instid0(SALU_CYCLE_1)
	v_mov_b64_e32 v[2:3], s[2:3]
	s_and_not1_b32 vcc_lo, exec_lo, s6
	s_cbranch_vccnz .LBB16_4
; %bb.3:
	v_mov_b32_e32 v1, 0
	flat_load_b64 v[2:3], v1, s[16:17]
.LBB16_4:
	v_cndmask_b32_e64 v13, 0, 1, s5
	s_mov_b32 s31, 0
	s_and_not1_b32 vcc_lo, exec_lo, s5
	s_mov_b32 s33, s31
	s_cbranch_vccnz .LBB16_10
; %bb.5:
	s_xor_b32 s2, s4, -1
	s_mov_b32 s31, s18
	s_wait_xcnt 0x0
	v_cndmask_b32_e64 v1, 0, 1, s2
	s_and_not1_b32 vcc_lo, exec_lo, s2
	s_cbranch_vccnz .LBB16_7
; %bb.6:
	s_load_b32 s31, s[18:19], 0x0
.LBB16_7:
	s_delay_alu instid0(VALU_DEP_1)
	v_cmp_ne_u32_e32 vcc_lo, 1, v1
	s_cbranch_vccnz .LBB16_9
; %bb.8:
	s_wait_xcnt 0x0
	s_load_b32 s19, s[18:19], 0x4
.LBB16_9:
	s_wait_kmcnt 0x0
	s_mov_b32 s33, s19
.LBB16_10:
	s_wait_xcnt 0x0
	s_load_b128 s[16:19], s[0:1], 0x30
	s_bfe_u32 s2, ttmp6, 0x4000c
	s_and_b32 s3, ttmp6, 15
	s_add_co_i32 s2, s2, 1
	s_getreg_b32 s4, hwreg(HW_REG_IB_STS2, 6, 4)
	s_mul_i32 s2, ttmp9, s2
	s_delay_alu instid0(SALU_CYCLE_1)
	s_add_co_i32 s3, s3, s2
	s_cmp_eq_u32 s4, 0
	s_cselect_b32 s2, ttmp9, s3
	s_load_b64 s[14:15], s[0:1], 0x40
	s_wait_kmcnt 0x0
	s_load_b32 s22, s[18:19], s2 offset:0x0 scale_offset
	s_load_b256 s[4:11], s[0:1], 0x8
	s_wait_kmcnt 0x0
	s_ashr_i32 s23, s22, 31
	s_delay_alu instid0(SALU_CYCLE_1)
	s_lshl_b64 s[18:19], s[22:23], 2
	s_mov_b32 s23, 0
	s_add_nc_u64 s[2:3], s[10:11], s[18:19]
	s_load_b32 s34, s[2:3], 0x0
	s_wait_kmcnt 0x0
	s_cmp_eq_u32 s34, -1
	s_cbranch_scc1 .LBB16_89
; %bb.11:
	s_add_nc_u64 s[2:3], s[4:5], s[18:19]
	v_bfe_u32 v1, v0, 10, 10
	s_load_b64 s[26:27], s[2:3], 0x0
	s_clause 0x1
	s_load_b64 s[24:25], s[0:1], 0x0
	s_load_b32 s21, s[0:1], 0x28
	v_and_b32_e32 v14, 0x3ff, v0
	v_mul_u32_u24_e32 v15, 0x48, v1
	v_add_nc_u32_e32 v12, 1, v1
	s_wait_kmcnt 0x0
	s_sub_co_i32 s36, s26, s20
	s_sub_co_i32 s30, s27, s20
	s_cmp_ge_i32 s36, s34
	s_cbranch_scc1 .LBB16_62
; %bb.12:
	v_dual_lshlrev_b32 v4, 3, v14 :: v_dual_add_nc_u32 v19, s36, v14
	s_cmp_eq_u32 s24, 0
	v_max_u32_e32 v5, v14, v1
	s_cselect_b32 vcc_lo, -1, 0
	s_cmp_gt_i32 s21, 0
	v_dual_cndmask_b32 v21, v14, v1 :: v_dual_add_nc_u32 v16, 0x240, v4
	v_mad_u32_u24 v17, 0x48, v1, v4
	s_cselect_b32 s37, -1, 0
	s_add_co_i32 s25, s25, 1
	s_cmp_lg_u32 s21, 1
	v_cmp_eq_u32_e64 s2, 0, v1
	v_cmp_gt_u32_e64 s3, s21, v5
	v_mad_u32_u24 v18, 0x48, v1, v16
	v_dual_cndmask_b32 v20, v1, v14, vcc_lo :: v_dual_add_nc_u32 v22, 1, v1
	s_cselect_b32 s38, -1, 0
	s_and_b32 s39, s21, 0x7ffffffe
	v_mad_u32_u24 v23, 0x48, v1, 0x48
	v_dual_mov_b32 v25, 0 :: v_dual_add_nc_u32 v24, 0x288, v17
	s_bitcmp1_b32 s21, 0
	s_add_nc_u64 s[26:27], s[0:1], 0x78
	s_cselect_b32 s40, -1, 0
	s_branch .LBB16_15
.LBB16_13:                              ;   in Loop: Header=BB16_15 Depth=1
	s_mov_b32 s23, -1
.LBB16_14:                              ;   in Loop: Header=BB16_15 Depth=1
	s_add_co_i32 s36, s36, 1
	s_delay_alu instid0(SALU_CYCLE_1) | instskip(SKIP_1) | instid1(SALU_CYCLE_1)
	s_cmp_lt_i32 s36, s34
	s_cselect_b32 s1, -1, 0
	s_and_b32 s0, s0, s1
	s_delay_alu instid0(SALU_CYCLE_1)
	s_and_b32 vcc_lo, exec_lo, s0
	s_cbranch_vccz .LBB16_62
.LBB16_15:                              ; =>This Loop Header: Depth=1
                                        ;     Child Loop BB16_19 Depth 2
                                        ;     Child Loop BB16_26 Depth 2
	;; [unrolled: 1-line block ×3, first 2 shown]
                                        ;       Child Loop BB16_51 Depth 3
                                        ;       Child Loop BB16_59 Depth 3
	v_mov_b32_e32 v4, s36
	global_load_b32 v5, v4, s[6:7] scale_offset
	s_wait_xcnt 0x0
	v_mov_b32_e32 v4, 0
	s_wait_loadcnt 0x0
	v_readfirstlane_b32 s0, v5
	v_mov_b32_e32 v5, 0
	s_and_saveexec_b32 s1, s3
	s_cbranch_execz .LBB16_17
; %bb.16:                               ;   in Loop: Header=BB16_15 Depth=1
	v_mad_u32 v4, s36, s21, v20
	s_delay_alu instid0(VALU_DEP_1)
	v_mad_u32 v4, v4, s21, v21
	global_load_b64 v[4:5], v4, s[8:9] scale_offset
.LBB16_17:                              ;   in Loop: Header=BB16_15 Depth=1
	s_wait_xcnt 0x0
	s_or_b32 exec_lo, exec_lo, s1
	s_sub_co_i32 s28, s0, s20
	s_wait_loadcnt 0x0
	ds_store_b64 v18, v[4:5]
	v_mov_b32_e32 v6, s28
	global_load_b32 v6, v6, s[10:11] scale_offset
	s_wait_loadcnt 0x0
	v_cmp_eq_u32_e32 vcc_lo, -1, v6
	v_readfirstlane_b32 s1, v6
	v_cmp_ne_u32_e64 s0, -1, v6
	s_cbranch_vccnz .LBB16_13
; %bb.18:                               ;   in Loop: Header=BB16_15 Depth=1
	s_ashr_i32 s29, s28, 31
	s_delay_alu instid0(SALU_CYCLE_1) | instskip(NEXT) | instid1(SALU_CYCLE_1)
	s_lshl_b64 s[28:29], s[28:29], 2
	s_add_nc_u64 s[42:43], s[4:5], s[28:29]
	s_add_nc_u64 s[28:29], s[16:17], s[28:29]
	global_load_b32 v4, v25, s[42:43] offset:4
	s_wait_loadcnt 0x0
	v_readfirstlane_b32 s41, v4
.LBB16_19:                              ;   Parent Loop BB16_15 Depth=1
                                        ; =>  This Inner Loop Header: Depth=2
	global_load_b32 v4, v25, s[28:29] scope:SCOPE_DEV
	s_wait_loadcnt 0x0
	v_cmp_eq_u32_e32 vcc_lo, 0, v4
	s_cbranch_vccnz .LBB16_19
; %bb.20:                               ;   in Loop: Header=BB16_15 Depth=1
	v_mov_b32_e32 v4, 0
	s_wait_dscnt 0x0
	global_inv scope:SCOPE_DEV
	v_mov_b32_e32 v5, v4
	s_wait_xcnt 0x0
	s_and_saveexec_b32 s28, s3
	s_cbranch_execz .LBB16_22
; %bb.21:                               ;   in Loop: Header=BB16_15 Depth=1
	v_mad_u32 v4, s1, s21, v20
	s_delay_alu instid0(VALU_DEP_1)
	v_mad_u32 v4, v4, s21, v21
	global_load_b64 v[4:5], v4, s[8:9] scale_offset
.LBB16_22:                              ;   in Loop: Header=BB16_15 Depth=1
	s_wait_xcnt 0x0
	s_or_b32 exec_lo, exec_lo, s28
	s_delay_alu instid0(SALU_CYCLE_1)
	s_and_not1_b32 vcc_lo, exec_lo, s37
	s_wait_loadcnt 0x0
	ds_store_b64 v17, v[4:5]
	s_wait_dscnt 0x0
	s_cbranch_vccnz .LBB16_40
; %bb.23:                               ;   in Loop: Header=BB16_15 Depth=1
	s_and_not1_b32 vcc_lo, exec_lo, s38
	s_mov_b32 s42, 0
	s_cbranch_vccnz .LBB16_34
; %bb.24:                               ;   in Loop: Header=BB16_15 Depth=1
	v_dual_mov_b32 v6, v16 :: v_dual_mov_b32 v7, v24
	v_mov_b32_e32 v8, v23
	s_mov_b32 s28, 0
	s_mov_b32 s29, 0
	s_branch .LBB16_26
.LBB16_25:                              ;   in Loop: Header=BB16_26 Depth=2
	s_or_b32 exec_lo, exec_lo, s42
	v_add_nc_u32_e32 v8, 0xa0, v8
	v_add_nc_u32_e32 v7, 0x90, v7
	;; [unrolled: 1-line block ×3, first 2 shown]
	s_add_co_i32 s29, s29, 2
	s_addk_co_i32 s28, 0xa0
	s_cmp_eq_u32 s39, s29
	s_mov_b32 s42, s39
	s_wait_dscnt 0x0
	s_cbranch_scc1 .LBB16_34
.LBB16_26:                              ;   Parent Loop BB16_15 Depth=1
                                        ; =>  This Inner Loop Header: Depth=2
	v_mov_b32_e32 v4, s28
	ds_load_b64 v[4:5], v4
	ds_load_b64 v[10:11], v6
	s_wait_dscnt 0x0
	v_mul_f32_e32 v9, v5, v5
	s_delay_alu instid0(VALU_DEP_1) | instskip(NEXT) | instid1(VALU_DEP_1)
	v_fmac_f32_e32 v9, v4, v4
	v_div_scale_f32 v26, null, v9, v9, 1.0
	v_div_scale_f32 v29, vcc_lo, 1.0, v9, 1.0
	s_delay_alu instid0(VALU_DEP_2)
	v_rcp_f32_e32 v27, v26
	v_nop
	v_xor_b32_e32 v26, 0x80000000, v26
	s_delay_alu instid0(TRANS32_DEP_1) | instid1(VALU_DEP_1)
	v_fma_f32 v28, v26, v27, 1.0
	s_delay_alu instid0(VALU_DEP_1) | instskip(NEXT) | instid1(VALU_DEP_1)
	v_fmac_f32_e32 v27, v28, v27
	v_mul_f32_e32 v28, v29, v27
	s_delay_alu instid0(VALU_DEP_1) | instskip(NEXT) | instid1(VALU_DEP_1)
	v_fma_f32 v30, v26, v28, v29
	v_fmac_f32_e32 v28, v30, v27
	s_delay_alu instid0(VALU_DEP_1) | instskip(NEXT) | instid1(VALU_DEP_1)
	v_fmac_f32_e32 v29, v26, v28
	v_div_fmas_f32 v28, v29, v27, v28
	v_pk_mul_f32 v[26:27], v[4:5], v[10:11] op_sel:[1,1] op_sel_hi:[1,0] neg_hi:[0,1]
	s_delay_alu instid0(VALU_DEP_2) | instskip(NEXT) | instid1(VALU_DEP_2)
	v_div_fixup_f32 v28, v28, v9, 1.0
	v_pk_fma_f32 v[4:5], v[10:11], v[4:5], v[26:27] op_sel_hi:[1,0,1]
	s_delay_alu instid0(VALU_DEP_1)
	v_pk_mul_f32 v[4:5], v[28:29], v[4:5] op_sel_hi:[0,1]
	s_and_saveexec_b32 s42, s2
; %bb.27:                               ;   in Loop: Header=BB16_26 Depth=2
	ds_store_b64 v6, v[4:5]
; %bb.28:                               ;   in Loop: Header=BB16_26 Depth=2
	s_or_b32 exec_lo, exec_lo, s42
	v_add_nc_u32_e32 v9, s29, v1
	s_mov_b32 s42, exec_lo
	s_delay_alu instid0(VALU_DEP_1) | instskip(NEXT) | instid1(VALU_DEP_1)
	v_add_nc_u32_e32 v10, 1, v9
	v_cmpx_gt_i32_e64 s21, v10
	s_cbranch_execz .LBB16_30
; %bb.29:                               ;   in Loop: Header=BB16_26 Depth=2
	ds_load_b64 v[10:11], v8
	ds_load_b64 v[26:27], v7
	s_wait_dscnt 0x0
	v_pk_fma_f32 v[26:27], v[4:5], v[10:11], v[26:27] op_sel_hi:[1,0,1] neg_lo:[1,0,0] neg_hi:[1,0,0]
	s_delay_alu instid0(VALU_DEP_1)
	v_pk_fma_f32 v[4:5], v[4:5], v[10:11], v[26:27] op_sel:[1,1,0] op_sel_hi:[0,1,1] neg_hi:[1,0,0]
	ds_store_b64 v7, v[4:5]
.LBB16_30:                              ;   in Loop: Header=BB16_26 Depth=2
	s_or_b32 exec_lo, exec_lo, s42
	v_mov_b32_e32 v4, s28
	s_wait_dscnt 0x0
	ds_load_b64 v[4:5], v4 offset:80
	ds_load_b64 v[10:11], v6 offset:72
	s_wait_dscnt 0x0
	v_mul_f32_e32 v28, v5, v5
	s_delay_alu instid0(VALU_DEP_1) | instskip(NEXT) | instid1(VALU_DEP_1)
	v_fmac_f32_e32 v28, v4, v4
	v_div_scale_f32 v26, null, v28, v28, 1.0
	s_delay_alu instid0(VALU_DEP_1)
	v_rcp_f32_e32 v27, v26
	v_nop
	v_xor_b32_e32 v26, 0x80000000, v26
	s_delay_alu instid0(TRANS32_DEP_1) | instid1(VALU_DEP_1)
	v_fma_f32 v29, v26, v27, 1.0
	s_delay_alu instid0(VALU_DEP_1) | instskip(SKIP_1) | instid1(VALU_DEP_1)
	v_fmac_f32_e32 v27, v29, v27
	v_div_scale_f32 v30, vcc_lo, 1.0, v28, 1.0
	v_mul_f32_e32 v29, v30, v27
	s_delay_alu instid0(VALU_DEP_1) | instskip(NEXT) | instid1(VALU_DEP_1)
	v_fma_f32 v31, v26, v29, v30
	v_fmac_f32_e32 v29, v31, v27
	s_delay_alu instid0(VALU_DEP_1) | instskip(NEXT) | instid1(VALU_DEP_1)
	v_fmac_f32_e32 v30, v26, v29
	v_div_fmas_f32 v29, v30, v27, v29
	v_pk_mul_f32 v[26:27], v[4:5], v[10:11] op_sel:[1,1] op_sel_hi:[1,0] neg_hi:[0,1]
	s_delay_alu instid0(VALU_DEP_2) | instskip(NEXT) | instid1(VALU_DEP_2)
	v_div_fixup_f32 v28, v29, v28, 1.0
	v_pk_fma_f32 v[4:5], v[10:11], v[4:5], v[26:27] op_sel_hi:[1,0,1]
	s_delay_alu instid0(VALU_DEP_1)
	v_pk_mul_f32 v[4:5], v[28:29], v[4:5] op_sel_hi:[0,1]
	s_and_saveexec_b32 s42, s2
; %bb.31:                               ;   in Loop: Header=BB16_26 Depth=2
	ds_store_b64 v6, v[4:5] offset:72
; %bb.32:                               ;   in Loop: Header=BB16_26 Depth=2
	s_or_b32 exec_lo, exec_lo, s42
	v_add_nc_u32_e32 v9, 2, v9
	s_mov_b32 s42, exec_lo
	s_delay_alu instid0(VALU_DEP_1)
	v_cmpx_gt_i32_e64 s21, v9
	s_cbranch_execz .LBB16_25
; %bb.33:                               ;   in Loop: Header=BB16_26 Depth=2
	ds_load_b64 v[10:11], v8 offset:80
	ds_load_b64 v[26:27], v7 offset:72
	s_wait_dscnt 0x0
	v_pk_fma_f32 v[26:27], v[4:5], v[10:11], v[26:27] op_sel_hi:[1,0,1] neg_lo:[1,0,0] neg_hi:[1,0,0]
	s_delay_alu instid0(VALU_DEP_1)
	v_pk_fma_f32 v[4:5], v[4:5], v[10:11], v[26:27] op_sel:[1,1,0] op_sel_hi:[0,1,1] neg_hi:[1,0,0]
	ds_store_b64 v7, v[4:5] offset:72
	s_branch .LBB16_25
.LBB16_34:                              ;   in Loop: Header=BB16_15 Depth=1
	s_and_not1_b32 vcc_lo, exec_lo, s40
	s_cbranch_vccnz .LBB16_40
; %bb.35:                               ;   in Loop: Header=BB16_15 Depth=1
	s_mul_i32 s28, s42, 0x48
	s_lshl_b32 s29, s42, 3
	v_add_nc_u32_e32 v6, s28, v16
	s_add_co_i32 s43, s28, s29
	s_delay_alu instid0(SALU_CYCLE_1) | instskip(SKIP_4) | instid1(VALU_DEP_1)
	v_mov_b32_e32 v4, s43
	ds_load_b64 v[8:9], v6
	ds_load_b64 v[4:5], v4
	s_wait_dscnt 0x0
	v_mul_f32_e32 v7, v5, v5
	v_fmac_f32_e32 v7, v4, v4
	s_delay_alu instid0(VALU_DEP_1) | instskip(SKIP_1) | instid1(VALU_DEP_2)
	v_div_scale_f32 v10, null, v7, v7, 1.0
	v_div_scale_f32 v27, vcc_lo, 1.0, v7, 1.0
	v_rcp_f32_e32 v11, v10
	v_nop
	v_xor_b32_e32 v10, 0x80000000, v10
	s_delay_alu instid0(TRANS32_DEP_1) | instid1(VALU_DEP_1)
	v_fma_f32 v26, v10, v11, 1.0
	s_delay_alu instid0(VALU_DEP_1) | instskip(NEXT) | instid1(VALU_DEP_1)
	v_fmac_f32_e32 v11, v26, v11
	v_mul_f32_e32 v26, v27, v11
	s_delay_alu instid0(VALU_DEP_1) | instskip(NEXT) | instid1(VALU_DEP_1)
	v_fma_f32 v28, v10, v26, v27
	v_fmac_f32_e32 v26, v28, v11
	s_delay_alu instid0(VALU_DEP_1) | instskip(NEXT) | instid1(VALU_DEP_1)
	v_fmac_f32_e32 v27, v10, v26
	v_div_fmas_f32 v26, v27, v11, v26
	v_pk_mul_f32 v[10:11], v[4:5], v[8:9] op_sel:[1,1] op_sel_hi:[1,0] neg_hi:[0,1]
	s_delay_alu instid0(VALU_DEP_2) | instskip(NEXT) | instid1(VALU_DEP_2)
	v_div_fixup_f32 v26, v26, v7, 1.0
	v_pk_fma_f32 v[4:5], v[8:9], v[4:5], v[10:11] op_sel_hi:[1,0,1]
	s_delay_alu instid0(VALU_DEP_1)
	v_pk_mul_f32 v[4:5], v[26:27], v[4:5] op_sel_hi:[0,1]
	s_and_saveexec_b32 s43, s2
; %bb.36:                               ;   in Loop: Header=BB16_15 Depth=1
	ds_store_b64 v6, v[4:5]
; %bb.37:                               ;   in Loop: Header=BB16_15 Depth=1
	s_or_b32 exec_lo, exec_lo, s43
	v_add_nc_u32_e32 v7, s42, v22
	s_mov_b32 s42, exec_lo
	s_delay_alu instid0(VALU_DEP_1)
	v_cmpx_gt_i32_e64 s21, v7
	s_cbranch_execz .LBB16_39
; %bb.38:                               ;   in Loop: Header=BB16_15 Depth=1
	v_add3_u32 v7, s29, s28, v15
	v_mad_u32_u24 v10, 0x48, v1, v6
	ds_load_b64 v[6:7], v7 offset:72
	ds_load_b64 v[8:9], v10 offset:72
	s_wait_dscnt 0x0
	v_pk_fma_f32 v[8:9], v[4:5], v[6:7], v[8:9] op_sel_hi:[1,0,1] neg_lo:[1,0,0] neg_hi:[1,0,0]
	s_delay_alu instid0(VALU_DEP_1)
	v_pk_fma_f32 v[4:5], v[4:5], v[6:7], v[8:9] op_sel:[1,1,0] op_sel_hi:[0,1,1] neg_hi:[1,0,0]
	ds_store_b64 v10, v[4:5] offset:72
.LBB16_39:                              ;   in Loop: Header=BB16_15 Depth=1
	s_or_b32 exec_lo, exec_lo, s42
	s_wait_dscnt 0x0
.LBB16_40:                              ;   in Loop: Header=BB16_15 Depth=1
	s_and_saveexec_b32 s28, s3
	s_cbranch_execz .LBB16_42
; %bb.41:                               ;   in Loop: Header=BB16_15 Depth=1
	v_mad_u32 v6, s36, s21, v20
	ds_load_b64 v[4:5], v18
	v_mad_u32 v6, v6, s21, v21
	s_wait_dscnt 0x0
	global_store_b64 v6, v[4:5], s[8:9] scale_offset
.LBB16_42:                              ;   in Loop: Header=BB16_15 Depth=1
	s_wait_xcnt 0x0
	s_or_b32 exec_lo, exec_lo, s28
	s_sub_co_i32 s28, s41, s20
	s_add_co_i32 s29, s1, 1
	s_delay_alu instid0(SALU_CYCLE_1)
	s_cmp_ge_i32 s29, s28
	s_cbranch_scc1 .LBB16_14
; %bb.43:                               ;   in Loop: Header=BB16_15 Depth=1
	s_load_b32 s1, s[26:27], 0xc
	s_wait_kmcnt 0x0
	s_and_b32 s1, s1, 0xffff
	s_delay_alu instid0(SALU_CYCLE_1) | instskip(NEXT) | instid1(VALU_DEP_1)
	v_mad_u32_u24 v4, v1, s1, v19
	v_ashrrev_i32_e32 v5, 31, v4
	v_cmp_gt_i32_e64 s1, s30, v4
	s_delay_alu instid0(VALU_DEP_2)
	v_lshl_add_u64 v[6:7], v[4:5], 2, s[6:7]
	s_branch .LBB16_46
.LBB16_44:                              ;   in Loop: Header=BB16_46 Depth=2
	s_wait_xcnt 0x0
	s_or_b32 exec_lo, exec_lo, s41
.LBB16_45:                              ;   in Loop: Header=BB16_46 Depth=2
	s_add_co_i32 s29, s29, 1
	s_wait_storecnt 0x0
	s_cmp_lt_i32 s29, s28
	s_cbranch_scc0 .LBB16_14
.LBB16_46:                              ;   Parent Loop BB16_15 Depth=1
                                        ; =>  This Loop Header: Depth=2
                                        ;       Child Loop BB16_51 Depth 3
                                        ;       Child Loop BB16_59 Depth 3
	v_dual_mov_b32 v5, s29 :: v_dual_mov_b32 v8, s25
	global_load_b32 v5, v5, s[6:7] scale_offset
	s_wait_xcnt 0x0
	s_and_saveexec_b32 s41, s1
	s_cbranch_execz .LBB16_48
; %bb.47:                               ;   in Loop: Header=BB16_46 Depth=2
	global_load_b32 v8, v[6:7], off
	s_wait_loadcnt 0x0
	v_subrev_nc_u32_e32 v8, s20, v8
.LBB16_48:                              ;   in Loop: Header=BB16_46 Depth=2
	s_wait_xcnt 0x0
	s_or_b32 exec_lo, exec_lo, s41
	s_wait_loadcnt 0x0
	v_subrev_nc_u32_e32 v5, s20, v5
	v_mov_b32_e32 v9, v4
	s_mov_b32 s41, exec_lo
	s_delay_alu instid0(VALU_DEP_2)
	v_cmpx_lt_i32_e64 v8, v5
	s_cbranch_execz .LBB16_54
; %bb.49:                               ;   in Loop: Header=BB16_46 Depth=2
	v_mov_b32_e32 v10, v4
	s_mov_b32 s42, 0
	s_branch .LBB16_51
.LBB16_50:                              ;   in Loop: Header=BB16_51 Depth=3
	s_wait_xcnt 0x0
	s_or_b32 exec_lo, exec_lo, s43
	s_delay_alu instid0(VALU_DEP_1) | instskip(SKIP_2) | instid1(SALU_CYCLE_1)
	v_cmp_ge_i32_e32 vcc_lo, v8, v5
	v_mov_b32_e32 v10, v9
	s_or_b32 s42, vcc_lo, s42
	s_and_not1_b32 exec_lo, exec_lo, s42
	s_cbranch_execz .LBB16_53
.LBB16_51:                              ;   Parent Loop BB16_15 Depth=1
                                        ;     Parent Loop BB16_46 Depth=2
                                        ; =>    This Inner Loop Header: Depth=3
	s_delay_alu instid0(VALU_DEP_1) | instskip(SKIP_1) | instid1(VALU_DEP_1)
	v_dual_mov_b32 v8, s25 :: v_dual_add_nc_u32 v9, 64, v10
	s_mov_b32 s43, exec_lo
	v_cmpx_gt_i32_e64 s30, v9
	s_cbranch_execz .LBB16_50
; %bb.52:                               ;   in Loop: Header=BB16_51 Depth=3
	global_load_b32 v8, v10, s[6:7] offset:256 scale_offset
	s_wait_loadcnt 0x0
	v_subrev_nc_u32_e32 v8, s20, v8
	s_branch .LBB16_50
.LBB16_53:                              ;   in Loop: Header=BB16_46 Depth=2
	s_or_b32 exec_lo, exec_lo, s42
.LBB16_54:                              ;   in Loop: Header=BB16_46 Depth=2
	s_delay_alu instid0(SALU_CYCLE_1)
	s_or_b32 exec_lo, exec_lo, s41
	v_cmp_eq_u32_e32 vcc_lo, v8, v5
	s_cbranch_vccz .LBB16_45
; %bb.55:                               ;   in Loop: Header=BB16_46 Depth=2
	s_ctz_i32_b32 s41, vcc_lo
	v_dual_mov_b32 v10, 0 :: v_dual_mov_b32 v11, 0
	s_lshl_b32 s41, s41, 2
	s_delay_alu instid0(SALU_CYCLE_1)
	v_mov_b32_e32 v5, s41
	ds_bpermute_b32 v5, v5, v9
	v_mov_b32_e32 v9, 0
	s_and_saveexec_b32 s41, s3
	s_cbranch_execz .LBB16_57
; %bb.56:                               ;   in Loop: Header=BB16_46 Depth=2
	v_mad_u32 v8, s29, s21, v20
	s_delay_alu instid0(VALU_DEP_1)
	v_mad_u32 v8, v8, s21, v21
	global_load_b64 v[10:11], v8, s[8:9] scale_offset
.LBB16_57:                              ;   in Loop: Header=BB16_46 Depth=2
	s_wait_xcnt 0x0
	s_or_b32 exec_lo, exec_lo, s41
	v_mov_b32_e32 v8, 0
	s_and_not1_b32 vcc_lo, exec_lo, s37
	s_wait_loadcnt 0x0
	ds_store_b64 v17, v[10:11]
	s_wait_storecnt_dscnt 0x0
	s_cbranch_vccnz .LBB16_60
; %bb.58:                               ;   in Loop: Header=BB16_46 Depth=2
	v_dual_mov_b32 v8, 0 :: v_dual_mov_b32 v10, v16
	v_mov_b32_e32 v11, v15
	s_mov_b32 s41, s21
	s_delay_alu instid0(VALU_DEP_2)
	v_mov_b32_e32 v9, v8
.LBB16_59:                              ;   Parent Loop BB16_15 Depth=1
                                        ;     Parent Loop BB16_46 Depth=2
                                        ; =>    This Inner Loop Header: Depth=3
	ds_load_b64 v[26:27], v11
	ds_load_b64 v[28:29], v10
	v_add_nc_u32_e32 v11, 8, v11
	v_add_nc_u32_e32 v10, 0x48, v10
	s_add_co_i32 s41, s41, -1
	s_delay_alu instid0(SALU_CYCLE_1) | instskip(SKIP_2) | instid1(VALU_DEP_1)
	s_cmp_eq_u32 s41, 0
	s_wait_dscnt 0x0
	v_pk_fma_f32 v[8:9], v[28:29], v[26:27], v[8:9] op_sel_hi:[1,0,1]
	v_pk_fma_f32 v[8:9], v[28:29], v[26:27], v[8:9] op_sel:[1,1,0] op_sel_hi:[0,1,1] neg_lo:[1,0,0]
	s_cbranch_scc0 .LBB16_59
.LBB16_60:                              ;   in Loop: Header=BB16_46 Depth=2
	s_and_saveexec_b32 s41, s3
	s_cbranch_execz .LBB16_44
; %bb.61:                               ;   in Loop: Header=BB16_46 Depth=2
	v_mad_u32 v5, v5, s21, v20
	s_delay_alu instid0(VALU_DEP_1)
	v_mad_u32 v5, v5, s21, v21
	global_load_b64 v[10:11], v5, s[8:9] scale_offset
	s_wait_loadcnt 0x0
	v_pk_add_f32 v[8:9], v[10:11], v[8:9] neg_lo:[0,1] neg_hi:[0,1]
	global_store_b64 v5, v[8:9], s[8:9] scale_offset
	s_branch .LBB16_44
.LBB16_62:
	v_mov_b32_e32 v4, s34
	global_load_b32 v4, v4, s[6:7] scale_offset
	s_wait_loadcnt 0x0
	s_wait_xcnt 0x0
	v_subrev_nc_u32_e32 v4, s20, v4
	s_delay_alu instid0(VALU_DEP_1)
	v_cmp_ne_u32_e32 vcc_lo, s22, v4
	s_cbranch_vccnz .LBB16_93
; %bb.63:
	v_max_u32_e32 v5, v14, v1
	v_mov_b32_e32 v4, 0
	s_delay_alu instid0(VALU_DEP_2) | instskip(NEXT) | instid1(VALU_DEP_2)
	v_cmp_gt_u32_e64 s0, s21, v5
	v_mov_b32_e32 v5, v4
	s_and_saveexec_b32 s1, s0
	s_cbranch_execz .LBB16_65
; %bb.64:
	s_cmp_eq_u32 s24, 0
	s_cselect_b32 vcc_lo, -1, 0
	v_dual_cndmask_b32 v4, v1, v14 :: v_dual_cndmask_b32 v5, v14, v1
	s_delay_alu instid0(VALU_DEP_1) | instskip(NEXT) | instid1(VALU_DEP_1)
	v_mad_u32 v4, s34, s21, v4
	v_mad_u32 v4, v4, s21, v5
	global_load_b64 v[4:5], v4, s[8:9] scale_offset
.LBB16_65:
	s_wait_xcnt 0x0
	s_or_b32 exec_lo, exec_lo, s1
	v_lshlrev_b32_e32 v6, 3, v14
	s_cmp_lt_i32 s21, 1
	s_delay_alu instid0(VALU_DEP_1)
	v_mad_u32_u24 v8, 0x48, v1, v6
	s_wait_loadcnt 0x0
	ds_store_b64 v8, v[4:5]
	s_wait_storecnt_dscnt 0x0
	s_cbranch_scc1 .LBB16_90
; %bb.66:
	v_cvt_f64_f32_e32 v[4:5], s35
	v_dual_add_nc_u32 v11, 1, v14 :: v_dual_bitop2_b32 v7, v14, v1 bitop3:0x54
	s_cmp_eq_u64 s[12:13], 8
	v_cmp_eq_u32_e64 s1, 0, v1
	s_cselect_b32 vcc_lo, -1, 0
	v_add3_u32 v9, v15, v6, 0x50
	v_mad_u32_u24 v10, 0x48, v1, 0x48
	v_add_nc_u32_e32 v16, 8, v6
	v_cmp_eq_u32_e64 s2, 0, v7
	v_mov_b32_e32 v17, v12
	s_mov_b32 s3, 0
	s_mov_b32 s6, s21
	;; [unrolled: 1-line block ×3, first 2 shown]
	v_dual_cndmask_b32 v3, v5, v3 :: v_dual_cndmask_b32 v2, v4, v2
.LBB16_67:                              ; =>This Inner Loop Header: Depth=1
	v_mov_b32_e32 v4, s3
	v_cmp_ne_u32_e32 vcc_lo, 1, v13
	s_mov_b32 s10, 0
	s_mov_b32 s11, -1
                                        ; implicit-def: $vgpr6_vgpr7
	ds_load_b64 v[4:5], v4
	s_wait_dscnt 0x0
	v_readfirstlane_b32 s4, v5
	v_readfirstlane_b32 s5, v4
	s_cbranch_vccz .LBB16_74
; %bb.68:                               ;   in Loop: Header=BB16_67 Depth=1
	s_and_b32 vcc_lo, exec_lo, s11
	s_mov_b32 s11, 0
	s_cbranch_vccnz .LBB16_82
.LBB16_69:                              ;   in Loop: Header=BB16_67 Depth=1
	s_and_not1_b32 vcc_lo, exec_lo, s10
                                        ; implicit-def: $sgpr4
	s_cbranch_vccz .LBB16_83
.LBB16_70:                              ;   in Loop: Header=BB16_67 Depth=1
	s_and_not1_b32 vcc_lo, exec_lo, s11
	s_cbranch_vccnz .LBB16_72
.LBB16_71:                              ;   in Loop: Header=BB16_67 Depth=1
	s_add_co_i32 s4, s7, 1
	s_mov_b32 s23, -1
.LBB16_72:                              ;   in Loop: Header=BB16_67 Depth=1
	v_add_nc_u32_e32 v9, 0x50, v9
	v_add_nc_u32_e32 v10, 0x50, v10
	v_dual_add_nc_u32 v17, 1, v17 :: v_dual_add_nc_u32 v11, 1, v11
	v_add_nc_u32_e32 v16, 0x50, v16
	s_add_co_i32 s6, s6, -1
	s_addk_co_i32 s3, 0x50
	s_cmp_eq_u32 s6, 0
	s_cbranch_scc1 .LBB16_90
; %bb.73:                               ;   in Loop: Header=BB16_67 Depth=1
	s_mov_b32 s7, s4
	s_branch .LBB16_67
.LBB16_74:                              ;   in Loop: Header=BB16_67 Depth=1
	s_xor_b32 s10, s5, 0x80000000
	s_cmp_lt_f32 s5, 0
	s_mov_b32 s12, -1
                                        ; implicit-def: $sgpr13
	s_cselect_b32 s10, s10, s5
	s_xor_b32 s11, s4, 0x80000000
	s_cmp_lt_f32 s4, 0
	s_cselect_b32 s11, s11, s4
	s_delay_alu instid0(SALU_CYCLE_1)
	s_cmp_ngt_f32 s10, s11
	s_cbranch_scc0 .LBB16_77
; %bb.75:                               ;   in Loop: Header=BB16_67 Depth=1
	s_cmp_eq_f32 s4, 0
	s_mov_b32 s12, 0
	s_mov_b32 s13, 0
	s_cbranch_scc1 .LBB16_77
; %bb.76:                               ;   in Loop: Header=BB16_67 Depth=1
	v_div_scale_f32 v6, null, s11, s11, s10
	v_div_scale_f32 v19, vcc_lo, s10, s11, s10
	s_delay_alu instid0(VALU_DEP_2)
	v_rcp_f32_e32 v7, v6
	v_nop
	v_xor_b32_e32 v6, 0x80000000, v6
	s_delay_alu instid0(TRANS32_DEP_1) | instid1(VALU_DEP_1)
	v_fma_f32 v18, v6, v7, 1.0
	s_delay_alu instid0(VALU_DEP_1) | instskip(NEXT) | instid1(VALU_DEP_1)
	v_fmac_f32_e32 v7, v18, v7
	v_mul_f32_e32 v18, v19, v7
	s_delay_alu instid0(VALU_DEP_1) | instskip(NEXT) | instid1(VALU_DEP_1)
	v_fma_f32 v20, v6, v18, v19
	v_fmac_f32_e32 v18, v20, v7
	s_delay_alu instid0(VALU_DEP_1) | instskip(NEXT) | instid1(VALU_DEP_1)
	v_fmac_f32_e32 v19, v6, v18
	v_div_fmas_f32 v6, v19, v7, v18
	s_delay_alu instid0(VALU_DEP_1) | instskip(NEXT) | instid1(VALU_DEP_1)
	v_div_fixup_f32 v6, v6, s11, s10
	v_readfirstlane_b32 s13, v6
	s_fmaak_f32 s13, s13, s13, 0x3f800000
	s_delay_alu instid0(SALU_CYCLE_3) | instskip(SKIP_1) | instid1(SALU_CYCLE_2)
	s_mul_f32 s25, s13, 0x4f800000
	s_cmp_lt_f32 s13, 0xf800000
	s_cselect_b32 s25, s25, s13
	s_delay_alu instid0(SALU_CYCLE_1) | instskip(SKIP_1) | instid1(TRANS32_DEP_1)
	v_s_sqrt_f32 s26, s25
	s_mov_b32 s28, s25
	s_add_co_i32 s27, s26, -1
	s_delay_alu instid0(SALU_CYCLE_1) | instskip(NEXT) | instid1(SALU_CYCLE_1)
	s_xor_b32 s29, s27, 0x80000000
	s_fmac_f32 s28, s29, s26
	s_mov_b32 s29, s25
	s_delay_alu instid0(SALU_CYCLE_2) | instskip(SKIP_2) | instid1(SALU_CYCLE_1)
	s_cmp_le_f32 s28, 0
	s_cselect_b32 s27, s27, s26
	s_add_co_i32 s28, s26, 1
	s_xor_b32 s35, s28, 0x80000000
	s_delay_alu instid0(SALU_CYCLE_1) | instskip(NEXT) | instid1(SALU_CYCLE_3)
	s_fmac_f32 s29, s35, s26
	s_cmp_gt_f32 s29, 0
	s_cselect_b32 s26, s28, s27
	s_cmp_lt_f32 s13, 0xf800000
	s_mul_f32 s13, s26, 0x37800000
	v_cmp_class_f32_e64 s27, s25, 0x260
	s_delay_alu instid0(SALU_CYCLE_2) | instskip(SKIP_2) | instid1(SALU_CYCLE_1)
	s_cselect_b32 s13, s13, s26
	s_and_b32 s26, s27, exec_lo
	s_cselect_b32 s13, s25, s13
	s_mul_f32 s13, s11, s13
.LBB16_77:                              ;   in Loop: Header=BB16_67 Depth=1
	s_and_not1_b32 vcc_lo, exec_lo, s12
	s_cbranch_vccnz .LBB16_79
; %bb.78:                               ;   in Loop: Header=BB16_67 Depth=1
	v_div_scale_f32 v6, null, s10, s10, s11
	v_div_scale_f32 v19, vcc_lo, s11, s10, s11
	s_delay_alu instid0(VALU_DEP_2)
	v_rcp_f32_e32 v7, v6
	v_nop
	v_xor_b32_e32 v6, 0x80000000, v6
	s_delay_alu instid0(TRANS32_DEP_1) | instid1(VALU_DEP_1)
	v_fma_f32 v18, v6, v7, 1.0
	s_delay_alu instid0(VALU_DEP_1) | instskip(NEXT) | instid1(VALU_DEP_1)
	v_fmac_f32_e32 v7, v18, v7
	v_mul_f32_e32 v18, v19, v7
	s_delay_alu instid0(VALU_DEP_1) | instskip(NEXT) | instid1(VALU_DEP_1)
	v_fma_f32 v20, v6, v18, v19
	v_fmac_f32_e32 v18, v20, v7
	s_delay_alu instid0(VALU_DEP_1) | instskip(NEXT) | instid1(VALU_DEP_1)
	v_fmac_f32_e32 v19, v6, v18
	v_div_fmas_f32 v6, v19, v7, v18
	s_delay_alu instid0(VALU_DEP_1) | instskip(NEXT) | instid1(VALU_DEP_1)
	v_div_fixup_f32 v6, v6, s10, s11
	v_readfirstlane_b32 s11, v6
	s_fmaak_f32 s11, s11, s11, 0x3f800000
	s_delay_alu instid0(SALU_CYCLE_3) | instskip(SKIP_1) | instid1(SALU_CYCLE_2)
	s_mul_f32 s12, s11, 0x4f800000
	s_cmp_lt_f32 s11, 0xf800000
	s_cselect_b32 s12, s12, s11
	s_delay_alu instid0(SALU_CYCLE_1) | instskip(SKIP_1) | instid1(TRANS32_DEP_1)
	v_s_sqrt_f32 s13, s12
	s_mov_b32 s26, s12
	s_add_co_i32 s25, s13, -1
	s_delay_alu instid0(SALU_CYCLE_1) | instskip(NEXT) | instid1(SALU_CYCLE_1)
	s_xor_b32 s27, s25, 0x80000000
	s_fmac_f32 s26, s27, s13
	s_mov_b32 s27, s12
	s_delay_alu instid0(SALU_CYCLE_2) | instskip(SKIP_2) | instid1(SALU_CYCLE_1)
	s_cmp_le_f32 s26, 0
	s_cselect_b32 s25, s25, s13
	s_add_co_i32 s26, s13, 1
	s_xor_b32 s28, s26, 0x80000000
	s_delay_alu instid0(SALU_CYCLE_1) | instskip(NEXT) | instid1(SALU_CYCLE_3)
	s_fmac_f32 s27, s28, s13
	s_cmp_gt_f32 s27, 0
	s_cselect_b32 s13, s26, s25
	s_cmp_lt_f32 s11, 0xf800000
	s_mul_f32 s11, s13, 0x37800000
	v_cmp_class_f32_e64 s25, s12, 0x260
	s_delay_alu instid0(SALU_CYCLE_2) | instskip(SKIP_2) | instid1(SALU_CYCLE_1)
	s_cselect_b32 s11, s11, s13
	s_and_b32 s13, s25, exec_lo
	s_cselect_b32 s11, s12, s11
	s_mul_f32 s13, s10, s11
.LBB16_79:                              ;   in Loop: Header=BB16_67 Depth=1
	s_delay_alu instid0(SALU_CYCLE_3) | instskip(NEXT) | instid1(VALU_DEP_1)
	v_cvt_f64_f32_e32 v[6:7], s13
	v_cmp_ge_f64_e32 vcc_lo, v[2:3], v[6:7]
	v_cndmask_b32_e64 v6, v5, s33, vcc_lo
	v_cndmask_b32_e64 v7, v4, s31, vcc_lo
	s_and_saveexec_b32 s10, s2
; %bb.80:                               ;   in Loop: Header=BB16_67 Depth=1
	s_delay_alu instid0(VALU_DEP_1)
	v_dual_mov_b32 v4, v7 :: v_dual_mov_b32 v5, v6
	v_mov_b32_e32 v18, s3
	ds_store_b64 v18, v[4:5]
; %bb.81:                               ;   in Loop: Header=BB16_67 Depth=1
	s_or_b32 exec_lo, exec_lo, s10
	s_mov_b32 s10, -1
	s_mov_b32 s11, 0
	s_branch .LBB16_69
.LBB16_82:                              ;   in Loop: Header=BB16_67 Depth=1
	s_or_b32 s10, s5, s4
	v_mov_b64_e32 v[6:7], s[4:5]
	s_bitset0_b32 s10, 31
	s_mov_b32 s11, -1
	s_cmp_lg_u32 s10, 0
	s_cselect_b32 s10, -1, 0
	s_delay_alu instid0(SALU_CYCLE_1)
	s_and_not1_b32 vcc_lo, exec_lo, s10
                                        ; implicit-def: $sgpr4
	s_cbranch_vccnz .LBB16_70
.LBB16_83:                              ;   in Loop: Header=BB16_67 Depth=1
	s_mov_b32 s4, exec_lo
	v_cmpx_gt_i32_e64 s21, v11
	s_cbranch_execz .LBB16_88
; %bb.84:                               ;   in Loop: Header=BB16_67 Depth=1
	v_mul_f32_e32 v20, v6, v6
	s_delay_alu instid0(VALU_DEP_1) | instskip(NEXT) | instid1(VALU_DEP_1)
	v_fmac_f32_e32 v20, v7, v7
	v_div_scale_f32 v18, null, v20, v20, 1.0
	v_div_scale_f32 v21, vcc_lo, 1.0, v20, 1.0
	s_delay_alu instid0(VALU_DEP_2) | instskip(SKIP_1) | instid1(TRANS32_DEP_1)
	v_rcp_f32_e32 v19, v18
	v_nop
	v_fma_f32 v4, -v18, v19, 1.0
	s_delay_alu instid0(VALU_DEP_1) | instskip(SKIP_3) | instid1(VALU_DEP_1)
	v_fmac_f32_e32 v19, v4, v19
	ds_load_b64 v[4:5], v16
	s_wait_dscnt 0x0
	v_mul_f32_e32 v22, v21, v19
	v_fma_f32 v23, -v18, v22, v21
	s_delay_alu instid0(VALU_DEP_1) | instskip(NEXT) | instid1(VALU_DEP_1)
	v_fmac_f32_e32 v22, v23, v19
	v_fma_f32 v18, -v18, v22, v21
	s_delay_alu instid0(VALU_DEP_1) | instskip(SKIP_1) | instid1(VALU_DEP_2)
	v_div_fmas_f32 v21, v18, v19, v22
	v_pk_mul_f32 v[18:19], v[6:7], v[4:5] op_sel:[0,1] op_sel_hi:[0,0] neg_hi:[0,1]
	v_div_fixup_f32 v20, v21, v20, 1.0
	s_delay_alu instid0(VALU_DEP_2) | instskip(NEXT) | instid1(VALU_DEP_1)
	v_pk_fma_f32 v[4:5], v[4:5], v[6:7], v[18:19] op_sel:[0,1,0]
	v_pk_mul_f32 v[4:5], v[20:21], v[4:5] op_sel_hi:[0,1]
	s_and_saveexec_b32 s5, s1
; %bb.85:                               ;   in Loop: Header=BB16_67 Depth=1
	ds_store_b64 v16, v[4:5]
; %bb.86:                               ;   in Loop: Header=BB16_67 Depth=1
	s_or_b32 exec_lo, exec_lo, s5
	v_cmp_gt_i32_e32 vcc_lo, s21, v17
	s_and_b32 exec_lo, exec_lo, vcc_lo
	s_cbranch_execz .LBB16_88
; %bb.87:                               ;   in Loop: Header=BB16_67 Depth=1
	ds_load_b64 v[6:7], v10
	ds_load_b64 v[18:19], v9
	s_wait_dscnt 0x0
	v_pk_fma_f32 v[18:19], v[4:5], v[6:7], v[18:19] op_sel_hi:[1,0,1] neg_lo:[1,0,0] neg_hi:[1,0,0]
	s_delay_alu instid0(VALU_DEP_1)
	v_pk_fma_f32 v[4:5], v[4:5], v[6:7], v[18:19] op_sel:[1,1,0] op_sel_hi:[0,1,1] neg_hi:[1,0,0]
	ds_store_b64 v9, v[4:5]
.LBB16_88:                              ;   in Loop: Header=BB16_67 Depth=1
	s_or_b32 exec_lo, exec_lo, s4
	s_add_co_i32 s4, s7, 1
	s_cbranch_execz .LBB16_71
	s_branch .LBB16_72
.LBB16_89:
	s_mov_b32 s23, -1
	s_branch .LBB16_117
.LBB16_90:
	s_wait_dscnt 0x0
	s_and_saveexec_b32 s1, s0
	s_cbranch_execz .LBB16_92
; %bb.91:
	s_cmp_eq_u32 s24, 0
	s_cselect_b32 vcc_lo, -1, 0
	v_dual_cndmask_b32 v2, v1, v14 :: v_dual_cndmask_b32 v5, v14, v1
	s_delay_alu instid0(VALU_DEP_1)
	v_mad_u32 v4, s34, s21, v2
	ds_load_b64 v[2:3], v8
	v_mad_u32 v4, v4, s21, v5
	s_wait_dscnt 0x0
	global_store_b64 v4, v[2:3], s[8:9] scale_offset
.LBB16_92:
	s_wait_xcnt 0x0
	s_or_b32 exec_lo, exec_lo, s1
.LBB16_93:
	s_add_co_i32 s1, s34, 1
	s_delay_alu instid0(SALU_CYCLE_1)
	s_cmp_ge_i32 s1, s30
	s_cbranch_scc1 .LBB16_117
; %bb.94:
	s_cmp_eq_u32 s24, 0
	s_wait_dscnt 0x0
	v_max_u32_e32 v3, v14, v1
	s_cselect_b32 vcc_lo, -1, 0
	v_dual_cndmask_b32 v5, v1, v14 :: v_dual_lshlrev_b32 v2, 3, v14
	s_cmp_gt_i32 s21, 0
	v_dual_cndmask_b32 v6, v14, v1 :: v_dual_lshlrev_b32 v7, 3, v1
	s_delay_alu instid0(VALU_DEP_2)
	v_add3_u32 v4, v15, v2, 0x240
	v_mul_u32_u24_e32 v2, 0x48, v14
	s_cselect_b32 s2, -1, 0
	s_add_co_i32 s4, s21, -1
	s_and_b32 s3, s21, 3
	s_movk_i32 s6, 0x240
	s_cmp_gt_u32 s4, 2
	v_cmp_gt_u32_e64 s0, s21, v3
	s_cselect_b32 s4, -1, 0
	s_and_b32 s5, s21, 0x7ffffffc
	v_mad_u32_u24 v8, 0x48, v14, s6
	v_add_nc_u32_e32 v9, 8, v7
	v_add3_u32 v10, v2, v7, 0x248
	s_cmp_lg_u32 s3, 0
	s_cselect_b32 s6, -1, 0
	s_branch .LBB16_96
.LBB16_95:                              ;   in Loop: Header=BB16_96 Depth=1
	s_wait_xcnt 0x0
	s_or_b32 exec_lo, exec_lo, s7
	s_add_co_i32 s1, s1, 1
	s_delay_alu instid0(SALU_CYCLE_1)
	s_cmp_lt_i32 s1, s30
	s_cbranch_scc0 .LBB16_117
.LBB16_96:                              ; =>This Loop Header: Depth=1
                                        ;     Child Loop BB16_102 Depth 2
                                        ;     Child Loop BB16_113 Depth 2
	v_mad_u32 v2, s1, s21, v5
	s_wait_storecnt 0x0
	v_mov_b32_e32 v3, 0
	s_delay_alu instid0(VALU_DEP_2)
	v_mad_u32 v11, v2, s21, v6
	v_mov_b32_e32 v2, 0
	s_and_saveexec_b32 s7, s0
	s_cbranch_execz .LBB16_98
; %bb.97:                               ;   in Loop: Header=BB16_96 Depth=1
	global_load_b64 v[2:3], v11, s[8:9] scale_offset
.LBB16_98:                              ;   in Loop: Header=BB16_96 Depth=1
	s_wait_xcnt 0x0
	s_or_b32 exec_lo, exec_lo, s7
	s_delay_alu instid0(SALU_CYCLE_1)
	s_and_not1_b32 vcc_lo, exec_lo, s2
	s_wait_loadcnt 0x0
	ds_store_b64 v4, v[2:3]
	s_wait_dscnt 0x0
	s_cbranch_vccnz .LBB16_115
; %bb.99:                               ;   in Loop: Header=BB16_96 Depth=1
	s_and_not1_b32 vcc_lo, exec_lo, s4
	s_mov_b32 s11, 0
	s_cbranch_vccnz .LBB16_110
; %bb.100:                              ;   in Loop: Header=BB16_96 Depth=1
	v_mov_b32_e32 v2, v8
	s_mov_b32 s7, 0
	s_mov_b32 s10, 8
	s_branch .LBB16_102
.LBB16_101:                             ;   in Loop: Header=BB16_102 Depth=2
	s_or_b32 exec_lo, exec_lo, s11
	v_add_nc_u32_e32 v2, 32, v2
	s_add_co_i32 s7, s7, 4
	s_addk_co_i32 s10, 0x140
	s_cmp_eq_u32 s5, s7
	s_mov_b32 s11, s5
	s_cbranch_scc1 .LBB16_110
.LBB16_102:                             ;   Parent Loop BB16_96 Depth=1
                                        ; =>  This Inner Loop Header: Depth=2
	v_dual_add_nc_u32 v14, s7, v1 :: v_dual_add_nc_u32 v13, s10, v7
	s_delay_alu instid0(VALU_DEP_1) | instskip(NEXT) | instid1(VALU_DEP_1)
	v_add_nc_u32_e32 v3, 1, v14
	v_cmp_gt_i32_e32 vcc_lo, s21, v3
	v_add_nc_u32_e32 v3, v2, v7
	s_and_saveexec_b32 s11, vcc_lo
	s_cbranch_execz .LBB16_104
; %bb.103:                              ;   in Loop: Header=BB16_102 Depth=2
	ds_load_b64 v[16:17], v13
	ds_load_b64 v[18:19], v2
	ds_load_b64 v[20:21], v3 offset:8
	s_wait_dscnt 0x0
	v_pk_fma_f32 v[20:21], v[16:17], v[18:19], v[20:21] op_sel_hi:[1,0,1] neg_lo:[1,0,0] neg_hi:[1,0,0]
	s_delay_alu instid0(VALU_DEP_1)
	v_pk_fma_f32 v[16:17], v[16:17], v[18:19], v[20:21] op_sel:[1,1,0] op_sel_hi:[0,1,1] neg_hi:[1,0,0]
	ds_store_b64 v3, v[16:17] offset:8
.LBB16_104:                             ;   in Loop: Header=BB16_102 Depth=2
	s_or_b32 exec_lo, exec_lo, s11
	v_add_nc_u32_e32 v15, 2, v14
	s_mov_b32 s11, exec_lo
	s_delay_alu instid0(VALU_DEP_1)
	v_cmpx_gt_i32_e64 s21, v15
	s_cbranch_execz .LBB16_106
; %bb.105:                              ;   in Loop: Header=BB16_102 Depth=2
	ds_load_b64 v[16:17], v13 offset:80
	ds_load_b64 v[18:19], v2 offset:8
	;; [unrolled: 1-line block ×3, first 2 shown]
	s_wait_dscnt 0x0
	v_pk_fma_f32 v[20:21], v[16:17], v[18:19], v[20:21] op_sel_hi:[1,0,1] neg_lo:[1,0,0] neg_hi:[1,0,0]
	s_delay_alu instid0(VALU_DEP_1)
	v_pk_fma_f32 v[16:17], v[16:17], v[18:19], v[20:21] op_sel:[1,1,0] op_sel_hi:[0,1,1] neg_hi:[1,0,0]
	ds_store_b64 v3, v[16:17] offset:16
.LBB16_106:                             ;   in Loop: Header=BB16_102 Depth=2
	s_or_b32 exec_lo, exec_lo, s11
	v_add_nc_u32_e32 v15, 3, v14
	s_mov_b32 s11, exec_lo
	s_delay_alu instid0(VALU_DEP_1)
	v_cmpx_gt_i32_e64 s21, v15
	s_cbranch_execz .LBB16_108
; %bb.107:                              ;   in Loop: Header=BB16_102 Depth=2
	ds_load_b64 v[16:17], v13 offset:160
	ds_load_b64 v[18:19], v2 offset:16
	;; [unrolled: 1-line block ×3, first 2 shown]
	s_wait_dscnt 0x0
	v_pk_fma_f32 v[20:21], v[16:17], v[18:19], v[20:21] op_sel_hi:[1,0,1] neg_lo:[1,0,0] neg_hi:[1,0,0]
	s_delay_alu instid0(VALU_DEP_1)
	v_pk_fma_f32 v[16:17], v[16:17], v[18:19], v[20:21] op_sel:[1,1,0] op_sel_hi:[0,1,1] neg_hi:[1,0,0]
	ds_store_b64 v3, v[16:17] offset:24
.LBB16_108:                             ;   in Loop: Header=BB16_102 Depth=2
	s_or_b32 exec_lo, exec_lo, s11
	v_add_nc_u32_e32 v14, 4, v14
	s_mov_b32 s11, exec_lo
	s_delay_alu instid0(VALU_DEP_1)
	v_cmpx_gt_i32_e64 s21, v14
	s_cbranch_execz .LBB16_101
; %bb.109:                              ;   in Loop: Header=BB16_102 Depth=2
	ds_load_b64 v[14:15], v13 offset:240
	ds_load_b64 v[16:17], v2 offset:24
	ds_load_b64 v[18:19], v3 offset:32
	s_wait_dscnt 0x0
	v_pk_fma_f32 v[18:19], v[14:15], v[16:17], v[18:19] op_sel_hi:[1,0,1] neg_lo:[1,0,0] neg_hi:[1,0,0]
	s_delay_alu instid0(VALU_DEP_1)
	v_pk_fma_f32 v[14:15], v[14:15], v[16:17], v[18:19] op_sel:[1,1,0] op_sel_hi:[0,1,1] neg_hi:[1,0,0]
	ds_store_b64 v3, v[14:15] offset:32
	s_branch .LBB16_101
.LBB16_110:                             ;   in Loop: Header=BB16_96 Depth=1
	s_and_not1_b32 vcc_lo, exec_lo, s6
	s_cbranch_vccnz .LBB16_115
; %bb.111:                              ;   in Loop: Header=BB16_96 Depth=1
	v_mad_u32 v2, 0x50, s11, v9
	s_lshl_b32 s7, s11, 3
	s_delay_alu instid0(SALU_CYCLE_1)
	v_dual_add_nc_u32 v14, s11, v12 :: v_dual_add_nc_u32 v3, s7, v10
	v_add_nc_u32_e32 v13, s7, v8
	s_mov_b32 s7, s3
	s_branch .LBB16_113
.LBB16_112:                             ;   in Loop: Header=BB16_113 Depth=2
	s_or_b32 exec_lo, exec_lo, s10
	s_delay_alu instid0(VALU_DEP_4) | instskip(SKIP_3) | instid1(SALU_CYCLE_1)
	v_add_nc_u32_e32 v2, 0x50, v2
	v_dual_add_nc_u32 v3, 8, v3 :: v_dual_add_nc_u32 v13, 8, v13
	v_add_nc_u32_e32 v14, 1, v14
	s_add_co_i32 s7, s7, -1
	s_cmp_lg_u32 s7, 0
	s_cbranch_scc0 .LBB16_115
.LBB16_113:                             ;   Parent Loop BB16_96 Depth=1
                                        ; =>  This Inner Loop Header: Depth=2
	s_mov_b32 s10, exec_lo
	v_cmpx_gt_i32_e64 s21, v14
	s_cbranch_execz .LBB16_112
; %bb.114:                              ;   in Loop: Header=BB16_113 Depth=2
	ds_load_b64 v[16:17], v13
	ds_load_b64 v[18:19], v2
	;; [unrolled: 1-line block ×3, first 2 shown]
	s_wait_dscnt 0x0
	v_pk_fma_f32 v[20:21], v[18:19], v[16:17], v[20:21] op_sel_hi:[1,0,1] neg_lo:[1,0,0] neg_hi:[1,0,0]
	s_delay_alu instid0(VALU_DEP_1)
	v_pk_fma_f32 v[16:17], v[18:19], v[16:17], v[20:21] op_sel:[1,1,0] op_sel_hi:[0,1,1] neg_hi:[1,0,0]
	ds_store_b64 v3, v[16:17]
	s_branch .LBB16_112
.LBB16_115:                             ;   in Loop: Header=BB16_96 Depth=1
	s_wait_dscnt 0x0
	s_and_saveexec_b32 s7, s0
	s_cbranch_execz .LBB16_95
; %bb.116:                              ;   in Loop: Header=BB16_96 Depth=1
	ds_load_b64 v[2:3], v4
	s_wait_dscnt 0x0
	global_store_b64 v11, v[2:3], s[8:9] scale_offset
	s_branch .LBB16_95
.LBB16_117:
	v_and_b32_e32 v0, 0xfffff, v0
	s_mov_b32 s0, exec_lo
	s_delay_alu instid0(VALU_DEP_1)
	v_cmpx_eq_u32_e32 0, v0
	s_cbranch_execz .LBB16_121
; %bb.118:
	v_dual_mov_b32 v0, 0 :: v_dual_mov_b32 v1, 1
	s_add_nc_u64 s[0:1], s[16:17], s[18:19]
	s_and_not1_b32 vcc_lo, exec_lo, s23
	global_wb scope:SCOPE_DEV
	s_wait_storecnt 0x0
	s_wait_loadcnt_dscnt 0x0
	global_store_b32 v0, v1, s[0:1] scope:SCOPE_DEV
	s_cbranch_vccnz .LBB16_121
; %bb.119:
	s_wait_xcnt 0x0
	v_mbcnt_lo_u32_b32 v0, exec_lo, 0
	s_delay_alu instid0(VALU_DEP_1)
	v_cmp_eq_u32_e32 vcc_lo, 0, v0
	s_and_b32 exec_lo, exec_lo, vcc_lo
	s_cbranch_execz .LBB16_121
; %bb.120:
	s_add_co_i32 s0, s22, s20
	s_delay_alu instid0(SALU_CYCLE_1)
	v_dual_mov_b32 v0, 0 :: v_dual_mov_b32 v1, s0
	global_atomic_min_i32 v0, v1, s[14:15] scope:SCOPE_DEV
.LBB16_121:
	s_endpgm
	.section	.rodata,"a",@progbits
	.p2align	6, 0x0
	.amdhsa_kernel _ZN9rocsparseL11bsrilu0_2_8ILj64ELj64ELj8E21rocsparse_complex_numIfEEEv20rocsparse_direction_iPKiS5_PT2_S5_iPiS5_S8_21rocsparse_index_base_imNS_24const_host_device_scalarIfEENSA_IdEENSA_IS6_EEb
		.amdhsa_group_segment_fixed_size 1152
		.amdhsa_private_segment_fixed_size 0
		.amdhsa_kernarg_size 376
		.amdhsa_user_sgpr_count 2
		.amdhsa_user_sgpr_dispatch_ptr 0
		.amdhsa_user_sgpr_queue_ptr 0
		.amdhsa_user_sgpr_kernarg_segment_ptr 1
		.amdhsa_user_sgpr_dispatch_id 0
		.amdhsa_user_sgpr_kernarg_preload_length 0
		.amdhsa_user_sgpr_kernarg_preload_offset 0
		.amdhsa_user_sgpr_private_segment_size 0
		.amdhsa_wavefront_size32 1
		.amdhsa_uses_dynamic_stack 0
		.amdhsa_enable_private_segment 0
		.amdhsa_system_sgpr_workgroup_id_x 1
		.amdhsa_system_sgpr_workgroup_id_y 0
		.amdhsa_system_sgpr_workgroup_id_z 0
		.amdhsa_system_sgpr_workgroup_info 0
		.amdhsa_system_vgpr_workitem_id 1
		.amdhsa_next_free_vgpr 32
		.amdhsa_next_free_sgpr 44
		.amdhsa_named_barrier_count 0
		.amdhsa_reserve_vcc 1
		.amdhsa_float_round_mode_32 0
		.amdhsa_float_round_mode_16_64 0
		.amdhsa_float_denorm_mode_32 3
		.amdhsa_float_denorm_mode_16_64 3
		.amdhsa_fp16_overflow 0
		.amdhsa_memory_ordered 1
		.amdhsa_forward_progress 1
		.amdhsa_inst_pref_size 39
		.amdhsa_round_robin_scheduling 0
		.amdhsa_exception_fp_ieee_invalid_op 0
		.amdhsa_exception_fp_denorm_src 0
		.amdhsa_exception_fp_ieee_div_zero 0
		.amdhsa_exception_fp_ieee_overflow 0
		.amdhsa_exception_fp_ieee_underflow 0
		.amdhsa_exception_fp_ieee_inexact 0
		.amdhsa_exception_int_div_zero 0
	.end_amdhsa_kernel
	.section	.text._ZN9rocsparseL11bsrilu0_2_8ILj64ELj64ELj8E21rocsparse_complex_numIfEEEv20rocsparse_direction_iPKiS5_PT2_S5_iPiS5_S8_21rocsparse_index_base_imNS_24const_host_device_scalarIfEENSA_IdEENSA_IS6_EEb,"axG",@progbits,_ZN9rocsparseL11bsrilu0_2_8ILj64ELj64ELj8E21rocsparse_complex_numIfEEEv20rocsparse_direction_iPKiS5_PT2_S5_iPiS5_S8_21rocsparse_index_base_imNS_24const_host_device_scalarIfEENSA_IdEENSA_IS6_EEb,comdat
.Lfunc_end16:
	.size	_ZN9rocsparseL11bsrilu0_2_8ILj64ELj64ELj8E21rocsparse_complex_numIfEEEv20rocsparse_direction_iPKiS5_PT2_S5_iPiS5_S8_21rocsparse_index_base_imNS_24const_host_device_scalarIfEENSA_IdEENSA_IS6_EEb, .Lfunc_end16-_ZN9rocsparseL11bsrilu0_2_8ILj64ELj64ELj8E21rocsparse_complex_numIfEEEv20rocsparse_direction_iPKiS5_PT2_S5_iPiS5_S8_21rocsparse_index_base_imNS_24const_host_device_scalarIfEENSA_IdEENSA_IS6_EEb
                                        ; -- End function
	.set _ZN9rocsparseL11bsrilu0_2_8ILj64ELj64ELj8E21rocsparse_complex_numIfEEEv20rocsparse_direction_iPKiS5_PT2_S5_iPiS5_S8_21rocsparse_index_base_imNS_24const_host_device_scalarIfEENSA_IdEENSA_IS6_EEb.num_vgpr, 32
	.set _ZN9rocsparseL11bsrilu0_2_8ILj64ELj64ELj8E21rocsparse_complex_numIfEEEv20rocsparse_direction_iPKiS5_PT2_S5_iPiS5_S8_21rocsparse_index_base_imNS_24const_host_device_scalarIfEENSA_IdEENSA_IS6_EEb.num_agpr, 0
	.set _ZN9rocsparseL11bsrilu0_2_8ILj64ELj64ELj8E21rocsparse_complex_numIfEEEv20rocsparse_direction_iPKiS5_PT2_S5_iPiS5_S8_21rocsparse_index_base_imNS_24const_host_device_scalarIfEENSA_IdEENSA_IS6_EEb.numbered_sgpr, 44
	.set _ZN9rocsparseL11bsrilu0_2_8ILj64ELj64ELj8E21rocsparse_complex_numIfEEEv20rocsparse_direction_iPKiS5_PT2_S5_iPiS5_S8_21rocsparse_index_base_imNS_24const_host_device_scalarIfEENSA_IdEENSA_IS6_EEb.num_named_barrier, 0
	.set _ZN9rocsparseL11bsrilu0_2_8ILj64ELj64ELj8E21rocsparse_complex_numIfEEEv20rocsparse_direction_iPKiS5_PT2_S5_iPiS5_S8_21rocsparse_index_base_imNS_24const_host_device_scalarIfEENSA_IdEENSA_IS6_EEb.private_seg_size, 0
	.set _ZN9rocsparseL11bsrilu0_2_8ILj64ELj64ELj8E21rocsparse_complex_numIfEEEv20rocsparse_direction_iPKiS5_PT2_S5_iPiS5_S8_21rocsparse_index_base_imNS_24const_host_device_scalarIfEENSA_IdEENSA_IS6_EEb.uses_vcc, 1
	.set _ZN9rocsparseL11bsrilu0_2_8ILj64ELj64ELj8E21rocsparse_complex_numIfEEEv20rocsparse_direction_iPKiS5_PT2_S5_iPiS5_S8_21rocsparse_index_base_imNS_24const_host_device_scalarIfEENSA_IdEENSA_IS6_EEb.uses_flat_scratch, 0
	.set _ZN9rocsparseL11bsrilu0_2_8ILj64ELj64ELj8E21rocsparse_complex_numIfEEEv20rocsparse_direction_iPKiS5_PT2_S5_iPiS5_S8_21rocsparse_index_base_imNS_24const_host_device_scalarIfEENSA_IdEENSA_IS6_EEb.has_dyn_sized_stack, 0
	.set _ZN9rocsparseL11bsrilu0_2_8ILj64ELj64ELj8E21rocsparse_complex_numIfEEEv20rocsparse_direction_iPKiS5_PT2_S5_iPiS5_S8_21rocsparse_index_base_imNS_24const_host_device_scalarIfEENSA_IdEENSA_IS6_EEb.has_recursion, 0
	.set _ZN9rocsparseL11bsrilu0_2_8ILj64ELj64ELj8E21rocsparse_complex_numIfEEEv20rocsparse_direction_iPKiS5_PT2_S5_iPiS5_S8_21rocsparse_index_base_imNS_24const_host_device_scalarIfEENSA_IdEENSA_IS6_EEb.has_indirect_call, 0
	.section	.AMDGPU.csdata,"",@progbits
; Kernel info:
; codeLenInByte = 4980
; TotalNumSgprs: 46
; NumVgprs: 32
; ScratchSize: 0
; MemoryBound: 0
; FloatMode: 240
; IeeeMode: 1
; LDSByteSize: 1152 bytes/workgroup (compile time only)
; SGPRBlocks: 0
; VGPRBlocks: 1
; NumSGPRsForWavesPerEU: 46
; NumVGPRsForWavesPerEU: 32
; NamedBarCnt: 0
; Occupancy: 16
; WaveLimiterHint : 1
; COMPUTE_PGM_RSRC2:SCRATCH_EN: 0
; COMPUTE_PGM_RSRC2:USER_SGPR: 2
; COMPUTE_PGM_RSRC2:TRAP_HANDLER: 0
; COMPUTE_PGM_RSRC2:TGID_X_EN: 1
; COMPUTE_PGM_RSRC2:TGID_Y_EN: 0
; COMPUTE_PGM_RSRC2:TGID_Z_EN: 0
; COMPUTE_PGM_RSRC2:TIDIG_COMP_CNT: 1
	.section	.text._ZN9rocsparseL12bsrilu0_9_32ILj64ELj64ELj16E21rocsparse_complex_numIfEEEv20rocsparse_direction_iPKiS5_PT2_S5_iPiS5_S8_21rocsparse_index_base_imNS_24const_host_device_scalarIfEENSA_IdEENSA_IS6_EEb,"axG",@progbits,_ZN9rocsparseL12bsrilu0_9_32ILj64ELj64ELj16E21rocsparse_complex_numIfEEEv20rocsparse_direction_iPKiS5_PT2_S5_iPiS5_S8_21rocsparse_index_base_imNS_24const_host_device_scalarIfEENSA_IdEENSA_IS6_EEb,comdat
	.globl	_ZN9rocsparseL12bsrilu0_9_32ILj64ELj64ELj16E21rocsparse_complex_numIfEEEv20rocsparse_direction_iPKiS5_PT2_S5_iPiS5_S8_21rocsparse_index_base_imNS_24const_host_device_scalarIfEENSA_IdEENSA_IS6_EEb ; -- Begin function _ZN9rocsparseL12bsrilu0_9_32ILj64ELj64ELj16E21rocsparse_complex_numIfEEEv20rocsparse_direction_iPKiS5_PT2_S5_iPiS5_S8_21rocsparse_index_base_imNS_24const_host_device_scalarIfEENSA_IdEENSA_IS6_EEb
	.p2align	8
	.type	_ZN9rocsparseL12bsrilu0_9_32ILj64ELj64ELj16E21rocsparse_complex_numIfEEEv20rocsparse_direction_iPKiS5_PT2_S5_iPiS5_S8_21rocsparse_index_base_imNS_24const_host_device_scalarIfEENSA_IdEENSA_IS6_EEb,@function
_ZN9rocsparseL12bsrilu0_9_32ILj64ELj64ELj16E21rocsparse_complex_numIfEEEv20rocsparse_direction_iPKiS5_PT2_S5_iPiS5_S8_21rocsparse_index_base_imNS_24const_host_device_scalarIfEENSA_IdEENSA_IS6_EEb: ; @_ZN9rocsparseL12bsrilu0_9_32ILj64ELj64ELj16E21rocsparse_complex_numIfEEEv20rocsparse_direction_iPKiS5_PT2_S5_iPiS5_S8_21rocsparse_index_base_imNS_24const_host_device_scalarIfEENSA_IdEENSA_IS6_EEb
; %bb.0:
	s_clause 0x2
	s_load_b32 s2, s[0:1], 0x70
	s_load_b64 s[10:11], s[0:1], 0x48
	s_load_b256 s[20:27], s[0:1], 0x50
	s_wait_kmcnt 0x0
	s_bitcmp1_b32 s2, 0
	s_cselect_b32 s4, -1, 0
	s_cmp_eq_u32 s11, 0
	s_cselect_b32 s2, -1, 0
	s_cmp_lg_u32 s11, 0
	s_cselect_b32 s5, -1, 0
	s_or_b32 s7, s2, s4
	s_delay_alu instid0(SALU_CYCLE_1)
	s_xor_b32 s6, s7, -1
	s_and_b32 s2, s2, exec_lo
	s_cselect_b32 s3, 0, s25
	s_cselect_b32 s2, 0, s24
	;; [unrolled: 1-line block ×3, first 2 shown]
	s_and_b32 vcc_lo, exec_lo, s7
	s_cbranch_vccnz .LBB17_2
; %bb.1:
	s_load_b32 s37, s[22:23], 0x0
	s_mov_b64 s[2:3], s[24:25]
.LBB17_2:
	s_delay_alu instid0(SALU_CYCLE_1)
	v_mov_b64_e32 v[2:3], s[2:3]
	s_and_not1_b32 vcc_lo, exec_lo, s6
	s_cbranch_vccnz .LBB17_4
; %bb.3:
	v_mov_b32_e32 v1, 0
	flat_load_b64 v[2:3], v1, s[24:25]
.LBB17_4:
	s_wait_xcnt 0x0
	v_cndmask_b32_e64 v1, 0, 1, s5
	s_mov_b32 s35, 0
	s_and_not1_b32 vcc_lo, exec_lo, s5
	s_mov_b32 s36, s35
	s_cbranch_vccnz .LBB17_10
; %bb.5:
	s_xor_b32 s2, s4, -1
	s_mov_b32 s35, s26
	v_cndmask_b32_e64 v4, 0, 1, s2
	s_and_not1_b32 vcc_lo, exec_lo, s2
	s_cbranch_vccnz .LBB17_7
; %bb.6:
	s_load_b32 s35, s[26:27], 0x0
.LBB17_7:
	s_delay_alu instid0(VALU_DEP_1)
	v_cmp_ne_u32_e32 vcc_lo, 1, v4
	s_cbranch_vccnz .LBB17_9
; %bb.8:
	s_wait_xcnt 0x0
	s_load_b32 s27, s[26:27], 0x4
.LBB17_9:
	s_wait_kmcnt 0x0
	s_mov_b32 s36, s27
.LBB17_10:
	s_load_b128 s[24:27], s[0:1], 0x30
	s_bfe_u32 s2, ttmp6, 0x4000c
	s_and_b32 s3, ttmp6, 15
	s_add_co_i32 s2, s2, 1
	s_getreg_b32 s4, hwreg(HW_REG_IB_STS2, 6, 4)
	s_mul_i32 s2, ttmp9, s2
	s_mov_b32 s11, 0
	s_add_co_i32 s3, s3, s2
	s_cmp_eq_u32 s4, 0
	s_cselect_b32 s2, ttmp9, s3
	s_load_b64 s[22:23], s[0:1], 0x40
	s_wait_kmcnt 0x0
	s_load_b32 s28, s[26:27], s2 offset:0x0 scale_offset
	s_load_b256 s[12:19], s[0:1], 0x8
	s_wait_kmcnt 0x0
	s_ashr_i32 s29, s28, 31
	s_delay_alu instid0(SALU_CYCLE_1) | instskip(NEXT) | instid1(SALU_CYCLE_1)
	s_lshl_b64 s[26:27], s[28:29], 2
	s_add_nc_u64 s[2:3], s[18:19], s[26:27]
	s_load_b32 s34, s[2:3], 0x0
	s_wait_kmcnt 0x0
	s_cmp_eq_u32 s34, -1
	s_cbranch_scc1 .LBB17_112
; %bb.11:
	s_add_nc_u64 s[2:3], s[12:13], s[26:27]
	s_load_b64 s[4:5], s[2:3], 0x0
	s_clause 0x1
	s_load_b64 s[30:31], s[0:1], 0x0
	s_load_b32 s29, s[0:1], 0x28
	s_wait_kmcnt 0x0
	s_sub_co_i32 s38, s4, s10
	s_sub_co_i32 s33, s5, s10
	s_cmp_ge_i32 s38, s34
	s_cbranch_scc1 .LBB17_101
; %bb.12:
	v_and_b32_e32 v23, 0x3ff, v0
	v_bfe_u32 v22, v0, 10, 10
	s_cmp_lg_u32 s30, 0
	s_mul_i32 s41, s29, s29
	s_cselect_b32 s39, -1, 0
	v_mad_u32 v8, s29, s38, v23
	v_dual_lshlrev_b32 v4, 4, v22 :: v_dual_lshlrev_b32 v6, 3, v23
	v_cmp_gt_i32_e64 s0, s29, v23
	v_cmp_le_i32_e64 s1, s29, v23
	v_cmp_gt_i32_e64 s2, s29, v22
	s_delay_alu instid0(VALU_DEP_4)
	v_add3_u32 v4, v4, v23, s38
	v_add_nc_u32_e32 v24, 1, v22
	v_add_nc_u32_e32 v26, 0x880, v6
	v_mad_u32_u24 v27, 0x88, v22, v6
	v_cmp_eq_u32_e64 s3, 0, v22
	v_mul_lo_u32 v29, s29, v8
	v_dual_ashrrev_i32 v5, 31, v4 :: v_dual_add_nc_u32 v25, 5, v22
	v_cmp_gt_i32_e64 s4, s33, v4
	v_mad_u32_u24 v28, 0x88, v22, v26
	v_mul_u32_u24_e32 v30, 0x88, v22
	s_delay_alu instid0(VALU_DEP_4)
	v_lshl_add_u64 v[6:7], v[4:5], 2, s[14:15]
	v_sub_nc_u32_e32 v5, -2, v22
	v_dual_mov_b32 v34, 0 :: v_dual_add_nc_u32 v31, 0x880, v27
	v_add_nc_u32_e32 v32, 0x908, v27
	v_mad_u32_u24 v33, 0x88, v22, 0x88
	s_cmp_gt_i32 s29, 0
	s_cselect_b32 s40, -1, 0
	s_add_co_i32 s31, s31, 1
	s_lshl_b32 s42, s29, 4
	s_branch .LBB17_15
.LBB17_13:                              ;   in Loop: Header=BB17_15 Depth=1
	s_mov_b32 s11, -1
.LBB17_14:                              ;   in Loop: Header=BB17_15 Depth=1
	s_add_co_i32 s38, s38, 1
	v_add_nc_u32_e32 v29, s41, v29
	s_cmp_lt_i32 s38, s34
	s_cselect_b32 s6, -1, 0
	s_delay_alu instid0(SALU_CYCLE_1) | instskip(NEXT) | instid1(SALU_CYCLE_1)
	s_and_b32 s5, s5, s6
	s_and_b32 vcc_lo, exec_lo, s5
	s_cbranch_vccz .LBB17_101
.LBB17_15:                              ; =>This Loop Header: Depth=1
                                        ;     Child Loop BB17_18 Depth 2
                                        ;       Child Loop BB17_21 Depth 3
                                        ;     Child Loop BB17_27 Depth 2
                                        ;     Child Loop BB17_31 Depth 2
                                        ;       Child Loop BB17_34 Depth 3
                                        ;     Child Loop BB17_41 Depth 2
                                        ;       Child Loop BB17_44 Depth 3
                                        ;         Child Loop BB17_49 Depth 4
                                        ;         Child Loop BB17_53 Depth 4
                                        ;     Child Loop BB17_57 Depth 2
                                        ;       Child Loop BB17_60 Depth 3
                                        ;     Child Loop BB17_69 Depth 2
                                        ;       Child Loop BB17_74 Depth 3
                                        ;       Child Loop BB17_83 Depth 3
                                        ;         Child Loop BB17_86 Depth 4
                                        ;       Child Loop BB17_92 Depth 3
                                        ;         Child Loop BB17_95 Depth 4
                                        ;           Child Loop BB17_96 Depth 5
	s_wait_xcnt 0x0
	v_mov_b32_e32 v8, s38
	global_load_b32 v8, v8, s[14:15] scale_offset
	s_wait_loadcnt 0x0
	v_readfirstlane_b32 s5, v8
	s_wait_xcnt 0x0
	s_and_saveexec_b32 s6, s0
	s_cbranch_execz .LBB17_25
; %bb.16:                               ;   in Loop: Header=BB17_15 Depth=1
	v_dual_mov_b32 v8, v31 :: v_dual_mov_b32 v9, v29
	v_mov_b32_e32 v10, v23
	s_mul_i32 s7, s38, s29
	s_mov_b32 s8, 0
	s_branch .LBB17_18
.LBB17_17:                              ;   in Loop: Header=BB17_18 Depth=2
	s_or_b32 exec_lo, exec_lo, s9
	v_dual_add_nc_u32 v10, 16, v10 :: v_dual_add_nc_u32 v9, s42, v9
	v_add_nc_u32_e32 v8, 0x80, v8
	s_delay_alu instid0(VALU_DEP_2) | instskip(SKIP_1) | instid1(SALU_CYCLE_1)
	v_cmp_le_i32_e32 vcc_lo, s29, v10
	s_or_b32 s8, vcc_lo, s8
	s_and_not1_b32 exec_lo, exec_lo, s8
	s_cbranch_execz .LBB17_25
.LBB17_18:                              ;   Parent Loop BB17_15 Depth=1
                                        ; =>  This Loop Header: Depth=2
                                        ;       Child Loop BB17_21 Depth 3
	s_and_saveexec_b32 s9, s2
	s_cbranch_execz .LBB17_17
; %bb.19:                               ;   in Loop: Header=BB17_18 Depth=2
	v_dual_mov_b32 v11, v8 :: v_dual_mov_b32 v12, v22
	s_mov_b32 s43, 0
	s_branch .LBB17_21
.LBB17_20:                              ;   in Loop: Header=BB17_21 Depth=3
	global_load_b64 v[14:15], v13, s[16:17] scale_offset
	v_add_nc_u32_e32 v12, 4, v12
	s_delay_alu instid0(VALU_DEP_1)
	v_cmp_le_i32_e32 vcc_lo, s29, v12
	s_or_b32 s43, vcc_lo, s43
	s_wait_loadcnt 0x0
	ds_store_b64 v11, v[14:15]
	v_add_nc_u32_e32 v11, 0x220, v11
	s_wait_xcnt 0x0
	s_and_not1_b32 exec_lo, exec_lo, s43
	s_cbranch_execz .LBB17_17
.LBB17_21:                              ;   Parent Loop BB17_15 Depth=1
                                        ;     Parent Loop BB17_18 Depth=2
                                        ; =>    This Inner Loop Header: Depth=3
	s_and_b32 vcc_lo, exec_lo, s39
	s_cbranch_vccz .LBB17_23
; %bb.22:                               ;   in Loop: Header=BB17_21 Depth=3
	v_add_nc_u32_e32 v13, s7, v12
	s_delay_alu instid0(VALU_DEP_1)
	v_mad_u32 v13, v13, s29, v10
	s_cbranch_execnz .LBB17_20
	s_branch .LBB17_24
.LBB17_23:                              ;   in Loop: Header=BB17_21 Depth=3
                                        ; implicit-def: $vgpr13
.LBB17_24:                              ;   in Loop: Header=BB17_21 Depth=3
	v_add_nc_u32_e32 v13, v9, v12
	s_branch .LBB17_20
.LBB17_25:                              ;   in Loop: Header=BB17_15 Depth=1
	s_or_b32 exec_lo, exec_lo, s6
	s_sub_co_i32 s6, s5, s10
	s_delay_alu instid0(SALU_CYCLE_1)
	v_mov_b32_e32 v8, s6
	global_load_b32 v8, v8, s[18:19] scale_offset
	s_wait_loadcnt 0x0
	v_cmp_eq_u32_e32 vcc_lo, -1, v8
	v_readfirstlane_b32 s43, v8
	v_cmp_ne_u32_e64 s5, -1, v8
	s_cbranch_vccnz .LBB17_13
; %bb.26:                               ;   in Loop: Header=BB17_15 Depth=1
	s_ashr_i32 s7, s6, 31
	s_delay_alu instid0(SALU_CYCLE_1) | instskip(NEXT) | instid1(SALU_CYCLE_1)
	s_lshl_b64 s[6:7], s[6:7], 2
	s_add_nc_u64 s[8:9], s[12:13], s[6:7]
	s_add_nc_u64 s[6:7], s[24:25], s[6:7]
	global_load_b32 v8, v34, s[8:9] offset:4
	s_wait_loadcnt 0x0
	v_readfirstlane_b32 s44, v8
.LBB17_27:                              ;   Parent Loop BB17_15 Depth=1
                                        ; =>  This Inner Loop Header: Depth=2
	global_load_b32 v8, v34, s[6:7] scope:SCOPE_DEV
	s_wait_loadcnt 0x0
	v_cmp_eq_u32_e32 vcc_lo, 0, v8
	s_cbranch_vccnz .LBB17_27
; %bb.28:                               ;   in Loop: Header=BB17_15 Depth=1
	s_wait_dscnt 0x0
	global_inv scope:SCOPE_DEV
	s_wait_xcnt 0x0
	s_and_saveexec_b32 s6, s0
	s_cbranch_execz .LBB17_38
; %bb.29:                               ;   in Loop: Header=BB17_15 Depth=1
	s_mul_i32 s7, s43, s29
	s_delay_alu instid0(SALU_CYCLE_1) | instskip(SKIP_2) | instid1(VALU_DEP_2)
	v_dual_mov_b32 v10, v23 :: v_dual_add_nc_u32 v8, s7, v23
	v_mov_b32_e32 v9, v27
	s_mov_b32 s8, 0
	v_mul_lo_u32 v8, s29, v8
	s_branch .LBB17_31
.LBB17_30:                              ;   in Loop: Header=BB17_31 Depth=2
	s_or_b32 exec_lo, exec_lo, s9
	s_delay_alu instid0(VALU_DEP_1) | instskip(SKIP_1) | instid1(VALU_DEP_2)
	v_dual_add_nc_u32 v10, 16, v10 :: v_dual_add_nc_u32 v8, s42, v8
	v_add_nc_u32_e32 v9, 0x80, v9
	v_cmp_le_i32_e32 vcc_lo, s29, v10
	s_or_b32 s8, vcc_lo, s8
	s_delay_alu instid0(SALU_CYCLE_1)
	s_and_not1_b32 exec_lo, exec_lo, s8
	s_cbranch_execz .LBB17_38
.LBB17_31:                              ;   Parent Loop BB17_15 Depth=1
                                        ; =>  This Loop Header: Depth=2
                                        ;       Child Loop BB17_34 Depth 3
	s_and_saveexec_b32 s9, s2
	s_cbranch_execz .LBB17_30
; %bb.32:                               ;   in Loop: Header=BB17_31 Depth=2
	v_dual_mov_b32 v11, v9 :: v_dual_mov_b32 v12, v22
	s_mov_b32 s45, 0
	s_branch .LBB17_34
.LBB17_33:                              ;   in Loop: Header=BB17_34 Depth=3
	global_load_b64 v[14:15], v13, s[16:17] scale_offset
	v_add_nc_u32_e32 v12, 4, v12
	s_delay_alu instid0(VALU_DEP_1)
	v_cmp_le_i32_e32 vcc_lo, s29, v12
	s_or_b32 s45, vcc_lo, s45
	s_wait_loadcnt 0x0
	ds_store_b64 v11, v[14:15]
	v_add_nc_u32_e32 v11, 0x220, v11
	s_wait_xcnt 0x0
	s_and_not1_b32 exec_lo, exec_lo, s45
	s_cbranch_execz .LBB17_30
.LBB17_34:                              ;   Parent Loop BB17_15 Depth=1
                                        ;     Parent Loop BB17_31 Depth=2
                                        ; =>    This Inner Loop Header: Depth=3
	s_and_b32 vcc_lo, exec_lo, s39
	s_cbranch_vccz .LBB17_36
; %bb.35:                               ;   in Loop: Header=BB17_34 Depth=3
	v_add_nc_u32_e32 v13, s7, v12
	s_delay_alu instid0(VALU_DEP_1)
	v_mad_u32 v13, v13, s29, v10
	s_cbranch_execnz .LBB17_33
	s_branch .LBB17_37
.LBB17_36:                              ;   in Loop: Header=BB17_34 Depth=3
                                        ; implicit-def: $vgpr13
.LBB17_37:                              ;   in Loop: Header=BB17_34 Depth=3
	s_delay_alu instid0(VALU_DEP_2)
	v_add_nc_u32_e32 v13, v8, v12
	s_branch .LBB17_33
.LBB17_38:                              ;   in Loop: Header=BB17_15 Depth=1
	s_or_b32 exec_lo, exec_lo, s6
	s_delay_alu instid0(SALU_CYCLE_1)
	s_and_not1_b32 vcc_lo, exec_lo, s40
	s_wait_loadcnt_dscnt 0x0
	s_cbranch_vccnz .LBB17_54
; %bb.39:                               ;   in Loop: Header=BB17_15 Depth=1
	v_dual_mov_b32 v35, v5 :: v_dual_mov_b32 v36, v25
	v_dual_mov_b32 v37, v33 :: v_dual_mov_b32 v38, v32
	s_mov_b32 s45, 0
	s_mov_b32 s46, 0
	s_branch .LBB17_41
.LBB17_40:                              ;   in Loop: Header=BB17_41 Depth=2
	s_or_b32 exec_lo, exec_lo, s47
	v_add_nc_u32_e32 v38, 0x88, v38
	v_add_nc_u32_e32 v37, 0x90, v37
	v_dual_add_nc_u32 v36, 1, v36 :: v_dual_add_nc_u32 v35, -1, v35
	s_add_co_i32 s46, s46, 1
	s_add_co_i32 s45, s45, 8
	s_cmp_eq_u32 s46, s29
	s_wait_dscnt 0x0
	s_cbranch_scc1 .LBB17_54
.LBB17_41:                              ;   Parent Loop BB17_15 Depth=1
                                        ; =>  This Loop Header: Depth=2
                                        ;       Child Loop BB17_44 Depth 3
                                        ;         Child Loop BB17_49 Depth 4
                                        ;         Child Loop BB17_53 Depth 4
	s_and_saveexec_b32 s47, s0
	s_cbranch_execz .LBB17_40
; %bb.42:                               ;   in Loop: Header=BB17_41 Depth=2
	s_mul_i32 s48, s46, 0x88
	s_lshl_b32 s6, s46, 3
	v_subrev_nc_u32_e32 v15, s46, v5
	s_add_co_i32 s6, s48, s6
	v_dual_mov_b32 v41, v38 :: v_dual_max_i32 v16, s29, v36
	v_mov_b32_e32 v8, s6
	s_mov_b32 s49, 0
	s_mov_b32 s50, 0
	s_delay_alu instid0(VALU_DEP_2)
	v_dual_mov_b32 v40, v26 :: v_dual_add_nc_u32 v16, v16, v35
	ds_load_b64 v[8:9], v8
	v_add_nc_u32_e32 v42, s48, v28
	s_addk_co_i32 s48, 0x880
	s_wait_dscnt 0x0
	v_dual_mov_b32 v46, v23 :: v_dual_mul_f32 v10, v9, v9
	s_delay_alu instid0(VALU_DEP_1) | instskip(NEXT) | instid1(VALU_DEP_1)
	v_fmac_f32_e32 v10, v8, v8
	v_div_scale_f32 v11, null, v10, v10, 1.0
	s_delay_alu instid0(VALU_DEP_1)
	v_rcp_f32_e32 v12, v11
	v_nop
	v_xor_b32_e32 v11, 0x80000000, v11
	s_delay_alu instid0(TRANS32_DEP_1) | instid1(VALU_DEP_1)
	v_fma_f32 v13, v11, v12, 1.0
	s_delay_alu instid0(VALU_DEP_1) | instskip(SKIP_1) | instid1(VALU_DEP_1)
	v_fmac_f32_e32 v12, v13, v12
	v_add_max_i32_e64 v13, v25, s46, s29
	v_add_nc_u32_e32 v13, v13, v15
	v_div_scale_f32 v14, vcc_lo, 1.0, v10, 1.0
	s_delay_alu instid0(VALU_DEP_1) | instskip(SKIP_2) | instid1(VALU_DEP_3)
	v_dual_mul_f32 v17, v14, v12 :: v_dual_lshrrev_b32 v18, 2, v13
	v_add_nc_u32_e32 v39, s46, v24
	v_cmp_gt_u32_e64 s7, 52, v13
	v_mul_hi_u32 v13, 0x220, v18
	s_delay_alu instid0(VALU_DEP_4) | instskip(SKIP_2) | instid1(VALU_DEP_3)
	v_fma_f32 v15, v11, v17, v14
	v_mul_lo_u32 v43, 0x220, v18
	v_cmp_gt_i32_e64 s6, s29, v39
	v_fmac_f32_e32 v17, v15, v12
	v_dual_lshrrev_b32 v15, 2, v16 :: v_dual_add_nc_u32 v16, 1, v18
	s_delay_alu instid0(VALU_DEP_1) | instskip(NEXT) | instid1(VALU_DEP_2)
	v_dual_fmac_f32 v14, v11, v17 :: v_dual_add_nc_u32 v11, 1, v15
	v_and_b32_e32 v15, 0x7ffffffe, v16
	v_cmp_ne_u32_e64 s8, 0, v13
	v_mov_b32_e32 v13, v8
	s_delay_alu instid0(VALU_DEP_4) | instskip(NEXT) | instid1(VALU_DEP_4)
	v_div_fmas_f32 v12, v14, v12, v17
	v_lshl_add_u32 v45, v15, 2, v39
	v_cmp_ne_u32_e32 vcc_lo, v16, v15
	s_delay_alu instid0(VALU_DEP_3) | instskip(SKIP_2) | instid1(VALU_DEP_3)
	v_div_fixup_f32 v10, v12, v10, 1.0
	v_mov_b32_e32 v12, v8
	v_and_b32_e32 v44, 0x7ffffffe, v11
	v_dual_mov_b32 v8, v9 :: v_dual_mov_b32 v11, v10
	s_branch .LBB17_44
.LBB17_43:                              ;   in Loop: Header=BB17_44 Depth=3
	s_or_b32 exec_lo, exec_lo, s51
	v_add_nc_u32_e32 v46, 16, v46
	v_add_nc_u32_e32 v41, 0x80, v41
	;; [unrolled: 1-line block ×3, first 2 shown]
	s_add_co_i32 s50, s50, 1
	s_delay_alu instid0(VALU_DEP_3) | instskip(SKIP_1) | instid1(SALU_CYCLE_1)
	v_cmp_le_i32_e64 s9, s29, v46
	s_or_b32 s49, s9, s49
	s_and_not1_b32 exec_lo, exec_lo, s49
	s_cbranch_execz .LBB17_40
.LBB17_44:                              ;   Parent Loop BB17_15 Depth=1
                                        ;     Parent Loop BB17_41 Depth=2
                                        ; =>    This Loop Header: Depth=3
                                        ;         Child Loop BB17_49 Depth 4
                                        ;         Child Loop BB17_53 Depth 4
	v_lshl_add_u32 v16, v46, 3, s48
	ds_load_b64 v[14:15], v16
	s_wait_dscnt 0x0
	v_pk_mul_f32 v[18:19], v[8:9], v[14:15] op_sel:[0,1] op_sel_hi:[1,0] neg_hi:[0,1]
	s_delay_alu instid0(VALU_DEP_1) | instskip(NEXT) | instid1(VALU_DEP_1)
	v_pk_fma_f32 v[14:15], v[14:15], v[12:13], v[18:19]
	v_pk_mul_f32 v[14:15], v[10:11], v[14:15]
	s_and_saveexec_b32 s9, s3
; %bb.45:                               ;   in Loop: Header=BB17_44 Depth=3
	ds_store_b64 v16, v[14:15]
; %bb.46:                               ;   in Loop: Header=BB17_44 Depth=3
	s_or_b32 exec_lo, exec_lo, s9
	s_and_saveexec_b32 s51, s6
	s_cbranch_execz .LBB17_43
; %bb.47:                               ;   in Loop: Header=BB17_44 Depth=3
	s_lshl_b32 s9, s50, 7
	s_delay_alu instid0(SALU_CYCLE_1) | instskip(NEXT) | instid1(VALU_DEP_1)
	v_add3_u32 v16, v42, s9, 0x88
	v_add_nc_u32_e32 v17, v16, v43
	s_delay_alu instid0(VALU_DEP_1) | instskip(SKIP_3) | instid1(SALU_CYCLE_1)
	v_cmp_lt_u32_e64 s9, v17, v16
	v_xor_b32_e32 v16, 0x80000000, v14
	v_mov_b32_e32 v17, v39
	s_or_b32 s9, s9, s8
	s_nor_b32 s53, s7, s9
	s_mov_b32 s9, -1
	s_and_saveexec_b32 s52, s53
	s_cbranch_execz .LBB17_51
; %bb.48:                               ;   in Loop: Header=BB17_44 Depth=3
	v_xor_b32_e32 v18, 0x80000000, v15
	v_dual_mov_b32 v17, v16 :: v_dual_mov_b32 v20, v15
	v_dual_mov_b32 v21, v15 :: v_dual_mov_b32 v47, v44
	s_delay_alu instid0(VALU_DEP_3)
	v_dual_mov_b32 v19, v18 :: v_dual_mov_b32 v48, v37
	v_mov_b32_e32 v49, v41
	s_mov_b32 s53, 0
.LBB17_49:                              ;   Parent Loop BB17_15 Depth=1
                                        ;     Parent Loop BB17_41 Depth=2
                                        ;       Parent Loop BB17_44 Depth=3
                                        ; =>      This Inner Loop Header: Depth=4
	ds_load_2addr_b64 v[50:53], v48 offset1:68
	ds_load_2addr_b64 v[54:57], v49 offset1:68
	v_add_nc_u32_e32 v48, 0x440, v48
	s_wait_dscnt 0x1
	v_dual_mov_b32 v58, v50 :: v_dual_mov_b32 v59, v52
	s_wait_dscnt 0x0
	v_dual_mov_b32 v60, v54 :: v_dual_mov_b32 v61, v56
	v_dual_mov_b32 v56, v55 :: v_dual_mov_b32 v52, v51
	s_delay_alu instid0(VALU_DEP_2) | instskip(NEXT) | instid1(VALU_DEP_2)
	v_pk_fma_f32 v[50:51], v[16:17], v[58:59], v[60:61]
	v_pk_fma_f32 v[54:55], v[18:19], v[58:59], v[56:57]
	s_delay_alu instid0(VALU_DEP_2) | instskip(NEXT) | instid1(VALU_DEP_2)
	v_pk_fma_f32 v[50:51], v[20:21], v[52:53], v[50:51]
	v_pk_fma_f32 v[52:53], v[16:17], v[52:53], v[54:55]
	s_delay_alu instid0(VALU_DEP_2) | instskip(NEXT) | instid1(VALU_DEP_2)
	v_dual_mov_b32 v54, v50 :: v_dual_add_nc_u32 v47, -2, v47
	v_dual_mov_b32 v55, v52 :: v_dual_mov_b32 v52, v51
	s_delay_alu instid0(VALU_DEP_2) | instskip(SKIP_3) | instid1(SALU_CYCLE_1)
	v_cmp_eq_u32_e64 s9, 0, v47
	ds_store_2addr_b64 v49, v[54:55], v[52:53] offset1:68
	v_add_nc_u32_e32 v49, 0x440, v49
	s_or_b32 s53, s9, s53
	s_and_not1_b32 exec_lo, exec_lo, s53
	s_cbranch_execnz .LBB17_49
; %bb.50:                               ;   in Loop: Header=BB17_44 Depth=3
	s_or_b32 exec_lo, exec_lo, s53
	v_mov_b32_e32 v17, v45
	s_or_not1_b32 s9, vcc_lo, exec_lo
.LBB17_51:                              ;   in Loop: Header=BB17_44 Depth=3
	s_or_b32 exec_lo, exec_lo, s52
	s_delay_alu instid0(SALU_CYCLE_1)
	s_and_b32 exec_lo, exec_lo, s9
	s_cbranch_execz .LBB17_43
; %bb.52:                               ;   in Loop: Header=BB17_44 Depth=3
	v_mul_lo_u32 v20, 0x88, v17
	v_dual_mov_b32 v18, v15 :: v_dual_mov_b32 v19, v16
	s_mov_b32 s52, 0
.LBB17_53:                              ;   Parent Loop BB17_15 Depth=1
                                        ;     Parent Loop BB17_41 Depth=2
                                        ;       Parent Loop BB17_44 Depth=3
                                        ; =>      This Inner Loop Header: Depth=4
	s_delay_alu instid0(VALU_DEP_2)
	v_dual_add_nc_u32 v16, s45, v20 :: v_dual_add_nc_u32 v21, v40, v20
	v_add_nc_u32_e32 v17, 4, v17
	v_add_nc_u32_e32 v20, 0x220, v20
	ds_load_b64 v[48:49], v16
	ds_load_b64 v[50:51], v21
	v_cmp_le_i32_e64 s9, s29, v17
	s_or_b32 s52, s9, s52
	s_wait_dscnt 0x0
	v_pk_fma_f32 v[50:51], v[14:15], v[48:49], v[50:51] op_sel_hi:[1,0,1] neg_lo:[1,0,0] neg_hi:[1,0,0]
	s_delay_alu instid0(VALU_DEP_1)
	v_pk_fma_f32 v[48:49], v[18:19], v[48:49], v[50:51] op_sel:[0,1,0]
	ds_store_b64 v21, v[48:49]
	s_and_not1_b32 exec_lo, exec_lo, s52
	s_cbranch_execnz .LBB17_53
	s_branch .LBB17_43
.LBB17_54:                              ;   in Loop: Header=BB17_15 Depth=1
	s_and_saveexec_b32 s6, s0
	s_cbranch_execz .LBB17_64
; %bb.55:                               ;   in Loop: Header=BB17_15 Depth=1
	v_dual_mov_b32 v8, v31 :: v_dual_mov_b32 v9, v29
	v_mov_b32_e32 v10, v23
	s_mul_i32 s7, s38, s29
	s_mov_b32 s8, 0
	s_branch .LBB17_57
.LBB17_56:                              ;   in Loop: Header=BB17_57 Depth=2
	s_or_b32 exec_lo, exec_lo, s9
	v_dual_add_nc_u32 v10, 16, v10 :: v_dual_add_nc_u32 v9, s42, v9
	v_add_nc_u32_e32 v8, 0x80, v8
	s_delay_alu instid0(VALU_DEP_2) | instskip(SKIP_1) | instid1(SALU_CYCLE_1)
	v_cmp_le_i32_e32 vcc_lo, s29, v10
	s_or_b32 s8, vcc_lo, s8
	s_and_not1_b32 exec_lo, exec_lo, s8
	s_cbranch_execz .LBB17_64
.LBB17_57:                              ;   Parent Loop BB17_15 Depth=1
                                        ; =>  This Loop Header: Depth=2
                                        ;       Child Loop BB17_60 Depth 3
	s_and_saveexec_b32 s9, s2
	s_cbranch_execz .LBB17_56
; %bb.58:                               ;   in Loop: Header=BB17_57 Depth=2
	v_dual_mov_b32 v11, v8 :: v_dual_mov_b32 v12, v22
	s_mov_b32 s45, 0
	s_branch .LBB17_60
.LBB17_59:                              ;   in Loop: Header=BB17_60 Depth=3
	ds_load_b64 v[14:15], v11
	v_add_nc_u32_e32 v12, 4, v12
	v_add_nc_u32_e32 v11, 0x220, v11
	s_delay_alu instid0(VALU_DEP_2)
	v_cmp_le_i32_e32 vcc_lo, s29, v12
	s_or_b32 s45, vcc_lo, s45
	s_wait_dscnt 0x0
	global_store_b64 v13, v[14:15], s[16:17] scale_offset
	s_wait_xcnt 0x0
	s_and_not1_b32 exec_lo, exec_lo, s45
	s_cbranch_execz .LBB17_56
.LBB17_60:                              ;   Parent Loop BB17_15 Depth=1
                                        ;     Parent Loop BB17_57 Depth=2
                                        ; =>    This Inner Loop Header: Depth=3
	s_and_b32 vcc_lo, exec_lo, s39
	s_cbranch_vccz .LBB17_62
; %bb.61:                               ;   in Loop: Header=BB17_60 Depth=3
	v_add_nc_u32_e32 v13, s7, v12
	s_delay_alu instid0(VALU_DEP_1)
	v_mad_u32 v13, v13, s29, v10
	s_cbranch_execnz .LBB17_59
	s_branch .LBB17_63
.LBB17_62:                              ;   in Loop: Header=BB17_60 Depth=3
                                        ; implicit-def: $vgpr13
.LBB17_63:                              ;   in Loop: Header=BB17_60 Depth=3
	v_add_nc_u32_e32 v13, v9, v12
	s_branch .LBB17_59
.LBB17_64:                              ;   in Loop: Header=BB17_15 Depth=1
	s_or_b32 exec_lo, exec_lo, s6
	s_sub_co_i32 s6, s44, s10
	s_add_co_i32 s7, s43, 1
	s_delay_alu instid0(SALU_CYCLE_1)
	s_cmp_ge_i32 s7, s6
	s_cbranch_scc1 .LBB17_14
; %bb.65:                               ;   in Loop: Header=BB17_15 Depth=1
	v_mad_u32 v8, s29, s7, v23
	s_delay_alu instid0(VALU_DEP_1)
	v_mul_lo_u32 v10, s29, v8
	s_branch .LBB17_69
.LBB17_66:                              ;   in Loop: Header=BB17_69 Depth=2
	s_or_b32 exec_lo, exec_lo, s9
.LBB17_67:                              ;   in Loop: Header=BB17_69 Depth=2
	s_delay_alu instid0(SALU_CYCLE_1)
	s_or_b32 exec_lo, exec_lo, s8
.LBB17_68:                              ;   in Loop: Header=BB17_69 Depth=2
	v_add_nc_u32_e32 v10, s41, v10
	s_add_co_i32 s7, s7, 1
	s_wait_storecnt_dscnt 0x0
	s_cmp_lt_i32 s7, s6
	s_cbranch_scc0 .LBB17_14
.LBB17_69:                              ;   Parent Loop BB17_15 Depth=1
                                        ; =>  This Loop Header: Depth=2
                                        ;       Child Loop BB17_74 Depth 3
                                        ;       Child Loop BB17_83 Depth 3
                                        ;         Child Loop BB17_86 Depth 4
                                        ;       Child Loop BB17_92 Depth 3
                                        ;         Child Loop BB17_95 Depth 4
                                        ;           Child Loop BB17_96 Depth 5
	v_dual_mov_b32 v8, s7 :: v_dual_mov_b32 v9, s31
	global_load_b32 v8, v8, s[14:15] scale_offset
	s_wait_xcnt 0x0
	s_and_saveexec_b32 s8, s4
	s_cbranch_execz .LBB17_71
; %bb.70:                               ;   in Loop: Header=BB17_69 Depth=2
	global_load_b32 v9, v[6:7], off
	s_wait_loadcnt 0x0
	v_subrev_nc_u32_e32 v9, s10, v9
.LBB17_71:                              ;   in Loop: Header=BB17_69 Depth=2
	s_wait_xcnt 0x0
	s_or_b32 exec_lo, exec_lo, s8
	s_wait_loadcnt 0x0
	v_subrev_nc_u32_e32 v8, s10, v8
	v_mov_b32_e32 v11, v4
	s_mov_b32 s8, exec_lo
	s_delay_alu instid0(VALU_DEP_2)
	v_cmpx_lt_i32_e64 v9, v8
	s_cbranch_execz .LBB17_77
; %bb.72:                               ;   in Loop: Header=BB17_69 Depth=2
	v_mov_b32_e32 v12, v4
	s_mov_b32 s9, 0
	s_branch .LBB17_74
.LBB17_73:                              ;   in Loop: Header=BB17_74 Depth=3
	s_wait_xcnt 0x0
	s_or_b32 exec_lo, exec_lo, s43
	s_delay_alu instid0(VALU_DEP_1) | instskip(SKIP_2) | instid1(SALU_CYCLE_1)
	v_cmp_ge_i32_e32 vcc_lo, v9, v8
	v_mov_b32_e32 v12, v11
	s_or_b32 s9, vcc_lo, s9
	s_and_not1_b32 exec_lo, exec_lo, s9
	s_cbranch_execz .LBB17_76
.LBB17_74:                              ;   Parent Loop BB17_15 Depth=1
                                        ;     Parent Loop BB17_69 Depth=2
                                        ; =>    This Inner Loop Header: Depth=3
	s_delay_alu instid0(VALU_DEP_1) | instskip(SKIP_1) | instid1(VALU_DEP_1)
	v_dual_add_nc_u32 v11, 64, v12 :: v_dual_mov_b32 v9, s31
	s_mov_b32 s43, exec_lo
	v_cmpx_gt_i32_e64 s33, v11
	s_cbranch_execz .LBB17_73
; %bb.75:                               ;   in Loop: Header=BB17_74 Depth=3
	global_load_b32 v9, v12, s[14:15] offset:256 scale_offset
	s_wait_loadcnt 0x0
	v_subrev_nc_u32_e32 v9, s10, v9
	s_branch .LBB17_73
.LBB17_76:                              ;   in Loop: Header=BB17_69 Depth=2
	s_or_b32 exec_lo, exec_lo, s9
.LBB17_77:                              ;   in Loop: Header=BB17_69 Depth=2
	s_delay_alu instid0(SALU_CYCLE_1)
	s_or_b32 exec_lo, exec_lo, s8
	v_cmp_eq_u32_e32 vcc_lo, v9, v8
	s_cbranch_vccz .LBB17_68
; %bb.78:                               ;   in Loop: Header=BB17_69 Depth=2
	s_ctz_i32_b32 s8, vcc_lo
	s_delay_alu instid0(SALU_CYCLE_1) | instskip(NEXT) | instid1(SALU_CYCLE_1)
	s_lshl_b32 s8, s8, 2
	v_mov_b32_e32 v8, s8
	ds_bpermute_b32 v8, v8, v11
	s_and_saveexec_b32 s8, s1
	s_delay_alu instid0(SALU_CYCLE_1)
	s_xor_b32 s8, exec_lo, s8
	s_cbranch_execz .LBB17_80
; %bb.79:                               ;   in Loop: Header=BB17_69 Depth=2
                                        ; implicit-def: $vgpr8
	s_wait_storecnt_dscnt 0x0
.LBB17_80:                              ;   in Loop: Header=BB17_69 Depth=2
	s_and_not1_saveexec_b32 s8, s8
	s_cbranch_execz .LBB17_67
; %bb.81:                               ;   in Loop: Header=BB17_69 Depth=2
	v_dual_mov_b32 v9, v27 :: v_dual_mov_b32 v11, v10
	v_mov_b32_e32 v12, v23
	s_mul_i32 s43, s7, s29
	s_mov_b32 s9, 0
	s_branch .LBB17_83
.LBB17_82:                              ;   in Loop: Header=BB17_83 Depth=3
	s_or_b32 exec_lo, exec_lo, s44
	v_dual_add_nc_u32 v12, 16, v12 :: v_dual_add_nc_u32 v11, s42, v11
	v_add_nc_u32_e32 v9, 0x80, v9
	s_delay_alu instid0(VALU_DEP_2) | instskip(SKIP_1) | instid1(SALU_CYCLE_1)
	v_cmp_le_i32_e32 vcc_lo, s29, v12
	s_or_b32 s9, vcc_lo, s9
	s_and_not1_b32 exec_lo, exec_lo, s9
	s_cbranch_execz .LBB17_90
.LBB17_83:                              ;   Parent Loop BB17_15 Depth=1
                                        ;     Parent Loop BB17_69 Depth=2
                                        ; =>    This Loop Header: Depth=3
                                        ;         Child Loop BB17_86 Depth 4
	s_and_saveexec_b32 s44, s2
	s_cbranch_execz .LBB17_82
; %bb.84:                               ;   in Loop: Header=BB17_83 Depth=3
	v_dual_mov_b32 v13, v9 :: v_dual_mov_b32 v14, v22
	s_mov_b32 s45, 0
	s_branch .LBB17_86
.LBB17_85:                              ;   in Loop: Header=BB17_86 Depth=4
	global_load_b64 v[16:17], v15, s[16:17] scale_offset
	v_add_nc_u32_e32 v14, 4, v14
	s_delay_alu instid0(VALU_DEP_1)
	v_cmp_le_i32_e32 vcc_lo, s29, v14
	s_or_b32 s45, vcc_lo, s45
	s_wait_loadcnt 0x0
	ds_store_b64 v13, v[16:17]
	v_add_nc_u32_e32 v13, 0x220, v13
	s_wait_xcnt 0x0
	s_and_not1_b32 exec_lo, exec_lo, s45
	s_cbranch_execz .LBB17_82
.LBB17_86:                              ;   Parent Loop BB17_15 Depth=1
                                        ;     Parent Loop BB17_69 Depth=2
                                        ;       Parent Loop BB17_83 Depth=3
                                        ; =>      This Inner Loop Header: Depth=4
	s_and_b32 vcc_lo, exec_lo, s39
	s_cbranch_vccz .LBB17_88
; %bb.87:                               ;   in Loop: Header=BB17_86 Depth=4
	v_add_nc_u32_e32 v15, s43, v14
	s_delay_alu instid0(VALU_DEP_1)
	v_mad_u32 v15, v15, s29, v12
	s_cbranch_execnz .LBB17_85
	s_branch .LBB17_89
.LBB17_88:                              ;   in Loop: Header=BB17_86 Depth=4
                                        ; implicit-def: $vgpr15
.LBB17_89:                              ;   in Loop: Header=BB17_86 Depth=4
	v_add_nc_u32_e32 v15, v11, v14
	s_branch .LBB17_85
.LBB17_90:                              ;   in Loop: Header=BB17_69 Depth=2
	s_or_b32 exec_lo, exec_lo, s9
	s_wait_dscnt 0x0
	v_mul_lo_u32 v11, v8, s29
	v_dual_mov_b32 v12, v26 :: v_dual_mov_b32 v13, v23
	s_mov_b32 s9, 0
	s_wait_storecnt 0x0
	s_branch .LBB17_92
.LBB17_91:                              ;   in Loop: Header=BB17_92 Depth=3
	s_or_b32 exec_lo, exec_lo, s43
	v_add_nc_u32_e32 v13, 16, v13
	v_add_nc_u32_e32 v12, 0x80, v12
	s_delay_alu instid0(VALU_DEP_2) | instskip(SKIP_1) | instid1(SALU_CYCLE_1)
	v_cmp_le_i32_e32 vcc_lo, s29, v13
	s_or_b32 s9, vcc_lo, s9
	s_and_not1_b32 exec_lo, exec_lo, s9
	s_cbranch_execz .LBB17_66
.LBB17_92:                              ;   Parent Loop BB17_15 Depth=1
                                        ;     Parent Loop BB17_69 Depth=2
                                        ; =>    This Loop Header: Depth=3
                                        ;         Child Loop BB17_95 Depth 4
                                        ;           Child Loop BB17_96 Depth 5
	s_and_saveexec_b32 s43, s2
	s_cbranch_execz .LBB17_91
; %bb.93:                               ;   in Loop: Header=BB17_92 Depth=3
	s_delay_alu instid0(VALU_DEP_2) | instskip(SKIP_2) | instid1(VALU_DEP_2)
	v_dual_mov_b32 v15, v30 :: v_dual_add_nc_u32 v8, v13, v11
	v_mov_b32_e32 v16, v22
	s_mov_b32 s44, 0
	v_mul_lo_u32 v14, v8, s29
	s_branch .LBB17_95
.LBB17_94:                              ;   in Loop: Header=BB17_95 Depth=4
	global_load_b64 v[18:19], v17, s[16:17] scale_offset
	v_add_nc_u32_e32 v16, 4, v16
	v_add_nc_u32_e32 v15, 0x220, v15
	s_delay_alu instid0(VALU_DEP_2)
	v_cmp_le_i32_e32 vcc_lo, s29, v16
	s_or_b32 s44, vcc_lo, s44
	s_wait_loadcnt 0x0
	v_pk_add_f32 v[8:9], v[18:19], v[8:9] neg_lo:[0,1] neg_hi:[0,1]
	global_store_b64 v17, v[8:9], s[16:17] scale_offset
	s_wait_xcnt 0x0
	s_and_not1_b32 exec_lo, exec_lo, s44
	s_cbranch_execz .LBB17_91
.LBB17_95:                              ;   Parent Loop BB17_15 Depth=1
                                        ;     Parent Loop BB17_69 Depth=2
                                        ;       Parent Loop BB17_92 Depth=3
                                        ; =>      This Loop Header: Depth=4
                                        ;           Child Loop BB17_96 Depth 5
	v_dual_mov_b32 v8, 0 :: v_dual_mov_b32 v17, v12
	v_mov_b32_e32 v18, v15
	s_mov_b32 s45, s29
	s_delay_alu instid0(VALU_DEP_2)
	v_mov_b32_e32 v9, v8
.LBB17_96:                              ;   Parent Loop BB17_15 Depth=1
                                        ;     Parent Loop BB17_69 Depth=2
                                        ;       Parent Loop BB17_92 Depth=3
                                        ;         Parent Loop BB17_95 Depth=4
                                        ; =>        This Inner Loop Header: Depth=5
	ds_load_b64 v[20:21], v18
	ds_load_b64 v[36:37], v17
	v_add_nc_u32_e32 v18, 8, v18
	v_add_nc_u32_e32 v17, 0x88, v17
	s_add_co_i32 s45, s45, -1
	s_delay_alu instid0(SALU_CYCLE_1) | instskip(SKIP_2) | instid1(VALU_DEP_1)
	s_cmp_eq_u32 s45, 0
	s_wait_dscnt 0x0
	v_pk_fma_f32 v[8:9], v[36:37], v[20:21], v[8:9] op_sel_hi:[1,0,1]
	v_pk_fma_f32 v[8:9], v[36:37], v[20:21], v[8:9] op_sel:[1,1,0] op_sel_hi:[0,1,1] neg_lo:[1,0,0]
	s_cbranch_scc0 .LBB17_96
; %bb.97:                               ;   in Loop: Header=BB17_95 Depth=4
	s_and_b32 vcc_lo, exec_lo, s39
	s_cbranch_vccz .LBB17_99
; %bb.98:                               ;   in Loop: Header=BB17_95 Depth=4
	v_add_nc_u32_e32 v17, v16, v11
	s_delay_alu instid0(VALU_DEP_1)
	v_mad_u32 v17, v17, s29, v13
	s_cbranch_execnz .LBB17_94
	s_branch .LBB17_100
.LBB17_99:                              ;   in Loop: Header=BB17_95 Depth=4
                                        ; implicit-def: $vgpr17
.LBB17_100:                             ;   in Loop: Header=BB17_95 Depth=4
	v_add_nc_u32_e32 v17, v16, v14
	s_branch .LBB17_94
.LBB17_101:
	v_mov_b32_e32 v4, s34
	global_load_b32 v4, v4, s[14:15] scale_offset
	s_wait_loadcnt 0x0
	s_wait_xcnt 0x0
	v_subrev_nc_u32_e32 v4, s10, v4
	s_delay_alu instid0(VALU_DEP_1)
	v_cmp_ne_u32_e32 vcc_lo, s28, v4
	s_cbranch_vccnz .LBB17_151
; %bb.102:
	v_and_b32_e32 v14, 0x3ff, v0
	s_delay_alu instid0(VALU_DEP_1)
	v_cmp_gt_i32_e64 s0, s29, v14
	v_lshlrev_b32_e32 v15, 3, v14
	s_and_saveexec_b32 s2, s0
	s_cbranch_execz .LBB17_113
; %bb.103:
	s_mul_i32 s3, s34, s29
	v_bfe_u32 v4, v0, 10, 10
	v_dual_add_nc_u32 v5, s3, v14 :: v_dual_mov_b32 v7, v14
	s_cmp_lg_u32 s30, 0
	s_mov_b32 s4, 0
	s_delay_alu instid0(VALU_DEP_2) | instskip(NEXT) | instid1(VALU_DEP_2)
	v_cmp_gt_u32_e64 s1, s29, v4
	v_mul_lo_u32 v5, s29, v5
	v_mad_u32_u24 v6, 0x88, v4, v15
	s_cselect_b32 s5, -1, 0
	s_lshl_b32 s6, s29, 4
	s_branch .LBB17_105
.LBB17_104:                             ;   in Loop: Header=BB17_105 Depth=1
	s_or_b32 exec_lo, exec_lo, s7
	s_delay_alu instid0(VALU_DEP_2) | instskip(SKIP_1) | instid1(VALU_DEP_2)
	v_dual_add_nc_u32 v7, 16, v7 :: v_dual_add_nc_u32 v5, s6, v5
	v_add_nc_u32_e32 v6, 0x80, v6
	v_cmp_le_i32_e32 vcc_lo, s29, v7
	s_or_b32 s4, vcc_lo, s4
	s_delay_alu instid0(SALU_CYCLE_1)
	s_and_not1_b32 exec_lo, exec_lo, s4
	s_cbranch_execz .LBB17_113
.LBB17_105:                             ; =>This Loop Header: Depth=1
                                        ;     Child Loop BB17_108 Depth 2
	s_and_saveexec_b32 s7, s1
	s_cbranch_execz .LBB17_104
; %bb.106:                              ;   in Loop: Header=BB17_105 Depth=1
	v_dual_mov_b32 v8, v6 :: v_dual_mov_b32 v9, v4
	s_mov_b32 s8, 0
	s_branch .LBB17_108
.LBB17_107:                             ;   in Loop: Header=BB17_108 Depth=2
	global_load_b64 v[10:11], v10, s[16:17] scale_offset
	v_add_nc_u32_e32 v9, 4, v9
	s_delay_alu instid0(VALU_DEP_1)
	v_cmp_le_i32_e32 vcc_lo, s29, v9
	s_or_b32 s8, vcc_lo, s8
	s_wait_loadcnt 0x0
	ds_store_b64 v8, v[10:11]
	v_add_nc_u32_e32 v8, 0x220, v8
	s_wait_xcnt 0x0
	s_and_not1_b32 exec_lo, exec_lo, s8
	s_cbranch_execz .LBB17_104
.LBB17_108:                             ;   Parent Loop BB17_105 Depth=1
                                        ; =>  This Inner Loop Header: Depth=2
	s_and_b32 vcc_lo, exec_lo, s5
	s_cbranch_vccz .LBB17_110
; %bb.109:                              ;   in Loop: Header=BB17_108 Depth=2
	v_add_nc_u32_e32 v10, s3, v9
	s_delay_alu instid0(VALU_DEP_1)
	v_mad_u32 v10, v10, s29, v7
	s_cbranch_execnz .LBB17_107
	s_branch .LBB17_111
.LBB17_110:                             ;   in Loop: Header=BB17_108 Depth=2
                                        ; implicit-def: $vgpr10
.LBB17_111:                             ;   in Loop: Header=BB17_108 Depth=2
	v_add_nc_u32_e32 v10, v5, v9
	s_branch .LBB17_107
.LBB17_112:
	s_mov_b32 s11, -1
	s_branch .LBB17_203
.LBB17_113:
	s_or_b32 exec_lo, exec_lo, s2
	s_cmp_lt_i32 s29, 1
	s_wait_storecnt_dscnt 0x0
	s_cbranch_scc1 .LBB17_140
; %bb.114:
	v_cvt_f64_f32_e32 v[4:5], s37
	v_bfe_u32 v16, v0, 10, 10
	s_cmp_eq_u64 s[20:21], 8
	s_mov_b32 s6, 0
	s_cselect_b32 vcc_lo, -1, 0
	s_delay_alu instid0(VALU_DEP_1) | instskip(SKIP_3) | instid1(VALU_DEP_3)
	v_or_b32_e32 v6, v14, v16
	v_mul_u32_u24_e32 v7, 0x88, v16
	v_cmp_eq_u32_e64 s1, 0, v16
	v_mad_u32_u24 v18, 0x88, v16, 0x88
	v_add3_u32 v17, v7, v15, 0x90
	v_cndmask_b32_e32 v3, v5, v3, vcc_lo
	v_cmp_eq_u32_e64 s2, 0, v6
	v_cndmask_b32_e32 v2, v4, v2, vcc_lo
.LBB17_115:                             ; =>This Loop Header: Depth=1
                                        ;     Child Loop BB17_132 Depth 2
                                        ;       Child Loop BB17_136 Depth 3
	s_mul_i32 s7, s6, 0x88
	s_lshl_b32 s3, s6, 3
	v_cmp_ne_u32_e32 vcc_lo, 1, v1
	s_add_co_i32 s3, s7, s3
	s_mov_b32 s8, 0
	v_mov_b32_e32 v4, s3
	s_mov_b32 s9, -1
	s_and_b32 vcc_lo, exec_lo, vcc_lo
	ds_load_b64 v[6:7], v4
                                        ; implicit-def: $vgpr4_vgpr5
	s_wait_dscnt 0x0
	v_readfirstlane_b32 s4, v7
	v_readfirstlane_b32 s5, v6
	s_cbranch_vccz .LBB17_120
; %bb.116:                              ;   in Loop: Header=BB17_115 Depth=1
	s_and_b32 vcc_lo, exec_lo, s9
	s_mov_b32 s3, 0
	s_cbranch_vccnz .LBB17_128
.LBB17_117:                             ;   in Loop: Header=BB17_115 Depth=1
	s_and_not1_b32 vcc_lo, exec_lo, s8
                                        ; implicit-def: $sgpr4
	s_cbranch_vccz .LBB17_129
.LBB17_118:                             ;   in Loop: Header=BB17_115 Depth=1
	s_and_not1_b32 vcc_lo, exec_lo, s3
	s_cbranch_vccz .LBB17_138
.LBB17_119:                             ;   in Loop: Header=BB17_115 Depth=1
	v_add_nc_u32_e32 v17, 0x90, v17
	v_add_nc_u32_e32 v18, 0x90, v18
	s_cmp_eq_u32 s4, s29
	s_cbranch_scc0 .LBB17_139
	s_branch .LBB17_140
.LBB17_120:                             ;   in Loop: Header=BB17_115 Depth=1
	s_xor_b32 s8, s5, 0x80000000
	s_cmp_lt_f32 s5, 0
	s_mov_b32 s12, -1
                                        ; implicit-def: $sgpr13
	s_cselect_b32 s8, s8, s5
	s_xor_b32 s9, s4, 0x80000000
	s_cmp_lt_f32 s4, 0
	s_cselect_b32 s9, s9, s4
	s_delay_alu instid0(SALU_CYCLE_1)
	s_cmp_ngt_f32 s8, s9
	s_cbranch_scc0 .LBB17_123
; %bb.121:                              ;   in Loop: Header=BB17_115 Depth=1
	s_cmp_eq_f32 s4, 0
	s_mov_b32 s12, 0
	s_mov_b32 s13, 0
	s_cbranch_scc1 .LBB17_123
; %bb.122:                              ;   in Loop: Header=BB17_115 Depth=1
	v_div_scale_f32 v4, null, s9, s9, s8
	v_div_scale_f32 v9, vcc_lo, s8, s9, s8
	s_delay_alu instid0(VALU_DEP_2)
	v_rcp_f32_e32 v5, v4
	v_nop
	v_xor_b32_e32 v4, 0x80000000, v4
	s_delay_alu instid0(TRANS32_DEP_1) | instid1(VALU_DEP_1)
	v_fma_f32 v8, v4, v5, 1.0
	s_delay_alu instid0(VALU_DEP_1) | instskip(NEXT) | instid1(VALU_DEP_1)
	v_fmac_f32_e32 v5, v8, v5
	v_mul_f32_e32 v8, v9, v5
	s_delay_alu instid0(VALU_DEP_1) | instskip(NEXT) | instid1(VALU_DEP_1)
	v_fma_f32 v10, v4, v8, v9
	v_fmac_f32_e32 v8, v10, v5
	s_delay_alu instid0(VALU_DEP_1) | instskip(NEXT) | instid1(VALU_DEP_1)
	v_fmac_f32_e32 v9, v4, v8
	v_div_fmas_f32 v4, v9, v5, v8
	s_delay_alu instid0(VALU_DEP_1) | instskip(NEXT) | instid1(VALU_DEP_1)
	v_div_fixup_f32 v4, v4, s9, s8
	v_readfirstlane_b32 s13, v4
	s_fmaak_f32 s13, s13, s13, 0x3f800000
	s_delay_alu instid0(SALU_CYCLE_3) | instskip(SKIP_1) | instid1(SALU_CYCLE_2)
	s_mul_f32 s14, s13, 0x4f800000
	s_cmp_lt_f32 s13, 0xf800000
	s_cselect_b32 s14, s14, s13
	s_delay_alu instid0(SALU_CYCLE_1) | instskip(SKIP_1) | instid1(TRANS32_DEP_1)
	v_s_sqrt_f32 s15, s14
	s_mov_b32 s19, s14
	s_add_co_i32 s18, s15, -1
	s_delay_alu instid0(SALU_CYCLE_1) | instskip(NEXT) | instid1(SALU_CYCLE_1)
	s_xor_b32 s20, s18, 0x80000000
	s_fmac_f32 s19, s20, s15
	s_mov_b32 s20, s14
	s_delay_alu instid0(SALU_CYCLE_2) | instskip(SKIP_2) | instid1(SALU_CYCLE_1)
	s_cmp_le_f32 s19, 0
	s_cselect_b32 s18, s18, s15
	s_add_co_i32 s19, s15, 1
	s_xor_b32 s21, s19, 0x80000000
	s_delay_alu instid0(SALU_CYCLE_1) | instskip(NEXT) | instid1(SALU_CYCLE_3)
	s_fmac_f32 s20, s21, s15
	s_cmp_gt_f32 s20, 0
	s_cselect_b32 s15, s19, s18
	s_cmp_lt_f32 s13, 0xf800000
	s_mul_f32 s13, s15, 0x37800000
	v_cmp_class_f32_e64 s18, s14, 0x260
	s_delay_alu instid0(SALU_CYCLE_2) | instskip(SKIP_2) | instid1(SALU_CYCLE_1)
	s_cselect_b32 s13, s13, s15
	s_and_b32 s15, s18, exec_lo
	s_cselect_b32 s13, s14, s13
	s_mul_f32 s13, s9, s13
.LBB17_123:                             ;   in Loop: Header=BB17_115 Depth=1
	s_and_not1_b32 vcc_lo, exec_lo, s12
	s_cbranch_vccnz .LBB17_125
; %bb.124:                              ;   in Loop: Header=BB17_115 Depth=1
	v_div_scale_f32 v4, null, s8, s8, s9
	v_div_scale_f32 v9, vcc_lo, s9, s8, s9
	s_delay_alu instid0(VALU_DEP_2)
	v_rcp_f32_e32 v5, v4
	v_nop
	v_xor_b32_e32 v4, 0x80000000, v4
	s_delay_alu instid0(TRANS32_DEP_1) | instid1(VALU_DEP_1)
	v_fma_f32 v8, v4, v5, 1.0
	s_delay_alu instid0(VALU_DEP_1) | instskip(NEXT) | instid1(VALU_DEP_1)
	v_fmac_f32_e32 v5, v8, v5
	v_mul_f32_e32 v8, v9, v5
	s_delay_alu instid0(VALU_DEP_1) | instskip(NEXT) | instid1(VALU_DEP_1)
	v_fma_f32 v10, v4, v8, v9
	v_fmac_f32_e32 v8, v10, v5
	s_delay_alu instid0(VALU_DEP_1) | instskip(NEXT) | instid1(VALU_DEP_1)
	v_fmac_f32_e32 v9, v4, v8
	v_div_fmas_f32 v4, v9, v5, v8
	s_delay_alu instid0(VALU_DEP_1) | instskip(NEXT) | instid1(VALU_DEP_1)
	v_div_fixup_f32 v4, v4, s8, s9
	v_readfirstlane_b32 s9, v4
	s_fmaak_f32 s9, s9, s9, 0x3f800000
	s_delay_alu instid0(SALU_CYCLE_3) | instskip(SKIP_1) | instid1(SALU_CYCLE_2)
	s_mul_f32 s12, s9, 0x4f800000
	s_cmp_lt_f32 s9, 0xf800000
	s_cselect_b32 s12, s12, s9
	s_delay_alu instid0(SALU_CYCLE_1) | instskip(SKIP_1) | instid1(TRANS32_DEP_1)
	v_s_sqrt_f32 s13, s12
	s_mov_b32 s15, s12
	s_add_co_i32 s14, s13, -1
	s_delay_alu instid0(SALU_CYCLE_1) | instskip(NEXT) | instid1(SALU_CYCLE_1)
	s_xor_b32 s18, s14, 0x80000000
	s_fmac_f32 s15, s18, s13
	s_mov_b32 s18, s12
	s_delay_alu instid0(SALU_CYCLE_2) | instskip(SKIP_2) | instid1(SALU_CYCLE_1)
	s_cmp_le_f32 s15, 0
	s_cselect_b32 s14, s14, s13
	s_add_co_i32 s15, s13, 1
	s_xor_b32 s19, s15, 0x80000000
	s_delay_alu instid0(SALU_CYCLE_1) | instskip(NEXT) | instid1(SALU_CYCLE_3)
	s_fmac_f32 s18, s19, s13
	s_cmp_gt_f32 s18, 0
	s_cselect_b32 s13, s15, s14
	s_cmp_lt_f32 s9, 0xf800000
	s_mul_f32 s9, s13, 0x37800000
	v_cmp_class_f32_e64 s14, s12, 0x260
	s_delay_alu instid0(SALU_CYCLE_2) | instskip(SKIP_2) | instid1(SALU_CYCLE_1)
	s_cselect_b32 s9, s9, s13
	s_and_b32 s13, s14, exec_lo
	s_cselect_b32 s9, s12, s9
	s_mul_f32 s13, s8, s9
.LBB17_125:                             ;   in Loop: Header=BB17_115 Depth=1
	s_delay_alu instid0(SALU_CYCLE_3) | instskip(NEXT) | instid1(VALU_DEP_1)
	v_cvt_f64_f32_e32 v[4:5], s13
	v_cmp_ge_f64_e32 vcc_lo, v[2:3], v[4:5]
	v_cndmask_b32_e64 v4, v7, s36, vcc_lo
	v_cndmask_b32_e64 v5, v6, s35, vcc_lo
	s_and_saveexec_b32 s8, s2
; %bb.126:                              ;   in Loop: Header=BB17_115 Depth=1
	s_delay_alu instid0(VALU_DEP_1)
	v_dual_mov_b32 v6, v5 :: v_dual_mov_b32 v7, v4
	v_mov_b32_e32 v8, s3
	ds_store_b64 v8, v[6:7]
; %bb.127:                              ;   in Loop: Header=BB17_115 Depth=1
	s_or_b32 exec_lo, exec_lo, s8
	s_mov_b32 s8, -1
	s_mov_b32 s3, 0
	s_branch .LBB17_117
.LBB17_128:                             ;   in Loop: Header=BB17_115 Depth=1
	s_or_b32 s3, s5, s4
	v_mov_b64_e32 v[4:5], s[4:5]
	s_bitset0_b32 s3, 31
	s_delay_alu instid0(SALU_CYCLE_1) | instskip(SKIP_2) | instid1(SALU_CYCLE_1)
	s_cmp_lg_u32 s3, 0
	s_mov_b32 s3, -1
	s_cselect_b32 s8, -1, 0
	s_and_not1_b32 vcc_lo, exec_lo, s8
                                        ; implicit-def: $sgpr4
	s_cbranch_vccnz .LBB17_118
.LBB17_129:                             ;   in Loop: Header=BB17_115 Depth=1
	s_add_co_i32 s4, s6, 1
	s_mov_b32 s5, exec_lo
	v_add_nc_u32_e32 v19, s4, v14
	s_delay_alu instid0(VALU_DEP_1)
	v_cmpx_gt_i32_e64 s29, v19
	s_cbranch_execz .LBB17_137
; %bb.130:                              ;   in Loop: Header=BB17_115 Depth=1
	v_mul_f32_e32 v6, v4, v4
	v_dual_mov_b32 v21, v17 :: v_dual_add_nc_u32 v20, s4, v16
	s_mov_b32 s8, 0
	s_delay_alu instid0(VALU_DEP_2) | instskip(NEXT) | instid1(VALU_DEP_1)
	v_fmac_f32_e32 v6, v5, v5
	v_div_scale_f32 v7, null, v6, v6, 1.0
	v_div_scale_f32 v10, vcc_lo, 1.0, v6, 1.0
	s_delay_alu instid0(VALU_DEP_2) | instskip(SKIP_1) | instid1(TRANS32_DEP_1)
	v_rcp_f32_e32 v8, v7
	v_nop
	v_fma_f32 v9, -v7, v8, 1.0
	s_delay_alu instid0(VALU_DEP_1) | instskip(NEXT) | instid1(VALU_DEP_1)
	v_fmac_f32_e32 v8, v9, v8
	v_mul_f32_e32 v9, v10, v8
	s_delay_alu instid0(VALU_DEP_1) | instskip(NEXT) | instid1(VALU_DEP_1)
	v_fma_f32 v11, -v7, v9, v10
	v_fmac_f32_e32 v9, v11, v8
	s_delay_alu instid0(VALU_DEP_1) | instskip(NEXT) | instid1(VALU_DEP_1)
	v_fma_f32 v7, -v7, v9, v10
	v_div_fmas_f32 v7, v7, v8, v9
	v_dual_mov_b32 v8, v4 :: v_dual_mov_b32 v9, v4
	v_cmp_gt_i32_e32 vcc_lo, s29, v20
	s_delay_alu instid0(VALU_DEP_3) | instskip(NEXT) | instid1(VALU_DEP_1)
	v_div_fixup_f32 v6, v7, v6, 1.0
	v_dual_mov_b32 v4, v5 :: v_dual_mov_b32 v7, v6
	s_branch .LBB17_132
.LBB17_131:                             ;   in Loop: Header=BB17_132 Depth=2
	s_or_b32 exec_lo, exec_lo, s9
	v_add_nc_u32_e32 v19, 16, v19
	v_add_nc_u32_e32 v21, 0x80, v21
	s_delay_alu instid0(VALU_DEP_2) | instskip(SKIP_1) | instid1(SALU_CYCLE_1)
	v_cmp_le_i32_e64 s3, s29, v19
	s_or_b32 s8, s3, s8
	s_and_not1_b32 exec_lo, exec_lo, s8
	s_cbranch_execz .LBB17_137
.LBB17_132:                             ;   Parent Loop BB17_115 Depth=1
                                        ; =>  This Loop Header: Depth=2
                                        ;       Child Loop BB17_136 Depth 3
	v_lshl_add_u32 v12, v19, 3, s7
	ds_load_b64 v[10:11], v12
	s_wait_dscnt 0x0
	v_pk_mul_f32 v[22:23], v[8:9], v[10:11] op_sel:[0,1] op_sel_hi:[1,0] neg_hi:[0,1]
	s_delay_alu instid0(VALU_DEP_1) | instskip(NEXT) | instid1(VALU_DEP_1)
	v_pk_fma_f32 v[10:11], v[10:11], v[4:5], v[22:23]
	v_pk_mul_f32 v[10:11], v[6:7], v[10:11]
	s_and_saveexec_b32 s3, s1
; %bb.133:                              ;   in Loop: Header=BB17_132 Depth=2
	ds_store_b64 v12, v[10:11]
; %bb.134:                              ;   in Loop: Header=BB17_132 Depth=2
	s_or_b32 exec_lo, exec_lo, s3
	s_and_saveexec_b32 s9, vcc_lo
	s_cbranch_execz .LBB17_131
; %bb.135:                              ;   in Loop: Header=BB17_132 Depth=2
	v_xor_b32_e32 v13, 0x80000000, v10
	v_dual_mov_b32 v12, v11 :: v_dual_mov_b32 v22, v18
	v_dual_mov_b32 v23, v21 :: v_dual_mov_b32 v24, v20
	s_mov_b32 s12, 0
.LBB17_136:                             ;   Parent Loop BB17_115 Depth=1
                                        ;     Parent Loop BB17_132 Depth=2
                                        ; =>    This Inner Loop Header: Depth=3
	ds_load_b64 v[26:27], v22
	ds_load_b64 v[28:29], v23
	v_add_nc_u32_e32 v24, 4, v24
	v_add_nc_u32_e32 v22, 0x220, v22
	s_delay_alu instid0(VALU_DEP_2) | instskip(SKIP_3) | instid1(VALU_DEP_1)
	v_cmp_le_i32_e64 s3, s29, v24
	s_or_b32 s12, s3, s12
	s_wait_dscnt 0x0
	v_pk_fma_f32 v[28:29], v[10:11], v[26:27], v[28:29] op_sel_hi:[1,0,1] neg_lo:[1,0,0] neg_hi:[1,0,0]
	v_pk_fma_f32 v[26:27], v[12:13], v[26:27], v[28:29] op_sel:[0,1,0]
	ds_store_b64 v23, v[26:27]
	v_add_nc_u32_e32 v23, 0x220, v23
	s_and_not1_b32 exec_lo, exec_lo, s12
	s_cbranch_execnz .LBB17_136
	s_branch .LBB17_131
.LBB17_137:                             ;   in Loop: Header=BB17_115 Depth=1
	s_or_b32 exec_lo, exec_lo, s5
	s_cbranch_execnz .LBB17_119
.LBB17_138:                             ;   in Loop: Header=BB17_115 Depth=1
	s_add_co_i32 s4, s6, 1
	s_mov_b32 s11, -1
	v_add_nc_u32_e32 v17, 0x90, v17
	v_add_nc_u32_e32 v18, 0x90, v18
	s_cmp_eq_u32 s4, s29
	s_cbranch_scc1 .LBB17_140
.LBB17_139:                             ;   in Loop: Header=BB17_115 Depth=1
	s_mov_b32 s6, s4
	s_branch .LBB17_115
.LBB17_140:
	s_wait_dscnt 0x0
	s_and_saveexec_b32 s1, s0
	s_cbranch_execz .LBB17_150
; %bb.141:
	s_mul_i32 s2, s34, s29
	v_bfe_u32 v1, v0, 10, 10
	v_add_nc_u32_e32 v2, s2, v14
	s_cmp_lg_u32 s30, 0
	s_mov_b32 s3, 0
	s_cselect_b32 s4, -1, 0
	v_cmp_gt_u32_e64 s0, s29, v1
	v_mul_lo_u32 v2, s29, v2
	v_mad_u32_u24 v3, 0x88, v1, v15
	s_lshl_b32 s5, s29, 4
	s_branch .LBB17_143
.LBB17_142:                             ;   in Loop: Header=BB17_143 Depth=1
	s_or_b32 exec_lo, exec_lo, s6
	v_add_nc_u32_e32 v14, 16, v14
	s_delay_alu instid0(VALU_DEP_3) | instskip(SKIP_1) | instid1(VALU_DEP_3)
	v_add_nc_u32_e32 v2, s5, v2
	v_add_nc_u32_e32 v3, 0x80, v3
	v_cmp_le_i32_e32 vcc_lo, s29, v14
	s_or_b32 s3, vcc_lo, s3
	s_delay_alu instid0(SALU_CYCLE_1)
	s_and_not1_b32 exec_lo, exec_lo, s3
	s_cbranch_execz .LBB17_150
.LBB17_143:                             ; =>This Loop Header: Depth=1
                                        ;     Child Loop BB17_146 Depth 2
	s_and_saveexec_b32 s6, s0
	s_cbranch_execz .LBB17_142
; %bb.144:                              ;   in Loop: Header=BB17_143 Depth=1
	v_dual_mov_b32 v4, v3 :: v_dual_mov_b32 v5, v1
	s_mov_b32 s7, 0
	s_branch .LBB17_146
.LBB17_145:                             ;   in Loop: Header=BB17_146 Depth=2
	ds_load_b64 v[8:9], v4
	v_add_nc_u32_e32 v5, 4, v5
	v_add_nc_u32_e32 v4, 0x220, v4
	s_delay_alu instid0(VALU_DEP_2)
	v_cmp_le_i32_e32 vcc_lo, s29, v5
	s_or_b32 s7, vcc_lo, s7
	s_wait_dscnt 0x0
	global_store_b64 v6, v[8:9], s[16:17] scale_offset
	s_wait_xcnt 0x0
	s_and_not1_b32 exec_lo, exec_lo, s7
	s_cbranch_execz .LBB17_142
.LBB17_146:                             ;   Parent Loop BB17_143 Depth=1
                                        ; =>  This Inner Loop Header: Depth=2
	s_and_b32 vcc_lo, exec_lo, s4
	s_cbranch_vccz .LBB17_148
; %bb.147:                              ;   in Loop: Header=BB17_146 Depth=2
	v_add_nc_u32_e32 v6, s2, v5
	s_delay_alu instid0(VALU_DEP_1)
	v_mad_u32 v6, v6, s29, v14
	s_cbranch_execnz .LBB17_145
	s_branch .LBB17_149
.LBB17_148:                             ;   in Loop: Header=BB17_146 Depth=2
                                        ; implicit-def: $vgpr6
.LBB17_149:                             ;   in Loop: Header=BB17_146 Depth=2
	v_add_nc_u32_e32 v6, v2, v5
	s_branch .LBB17_145
.LBB17_150:
	s_or_b32 exec_lo, exec_lo, s1
.LBB17_151:
	s_add_co_i32 s4, s34, 1
	s_delay_alu instid0(SALU_CYCLE_1)
	s_cmp_ge_i32 s4, s33
	s_cbranch_scc1 .LBB17_203
; %bb.152:
	v_and_b32_e32 v1, 0x3ff, v0
	s_wait_dscnt 0x0
	v_bfe_u32 v2, v0, 10, 10
	s_cmp_lg_u32 s30, 0
	s_movk_i32 s3, 0x888
	s_cselect_b32 s5, -1, 0
	v_mad_u32 v4, s29, s4, v1
	v_dual_add_nc_u32 v3, 1, v2 :: v_dual_lshlrev_b32 v8, 3, v2
	s_cmp_gt_i32 s29, 0
	v_mul_u32_u24_e32 v5, 0x88, v2
	s_cselect_b32 s6, -1, 0
	s_cmp_lg_u32 s29, 1
	v_dual_lshlrev_b32 v6, 3, v1 :: v_dual_add_nc_u32 v7, 8, v8
	v_mad_u32_u24 v9, 0x88, v1, v8
	s_cselect_b32 s7, -1, 0
	s_and_b32 s8, s29, 0x7ffffffe
	s_bitcmp1_b32 s29, 0
	v_cmp_gt_i32_e64 s0, s29, v1
	v_cmp_le_i32_e64 s1, s29, v1
	v_cmp_gt_i32_e64 s2, s29, v2
	v_mul_lo_u32 v4, s29, v4
	v_add3_u32 v5, v5, v6, 0x880
	v_add_nc_u32_e32 v6, 0x888, v9
	v_add_nc_u32_e32 v8, 0x98, v8
	;; [unrolled: 1-line block ×3, first 2 shown]
	v_mad_u32_u24 v10, 0x88, v1, s3
	s_cselect_b32 s9, -1, 0
	s_mul_i32 s12, s29, s29
	s_lshl_b32 s13, s29, 4
	s_branch .LBB17_155
.LBB17_153:                             ;   in Loop: Header=BB17_155 Depth=1
	s_or_b32 exec_lo, exec_lo, s14
.LBB17_154:                             ;   in Loop: Header=BB17_155 Depth=1
	s_delay_alu instid0(SALU_CYCLE_1) | instskip(SKIP_2) | instid1(SALU_CYCLE_1)
	s_or_b32 exec_lo, exec_lo, s3
	v_add_nc_u32_e32 v4, s12, v4
	s_add_co_i32 s4, s4, 1
	s_cmp_ge_i32 s4, s33
	s_cbranch_scc1 .LBB17_203
.LBB17_155:                             ; =>This Loop Header: Depth=1
                                        ;     Child Loop BB17_158 Depth 2
                                        ;       Child Loop BB17_161 Depth 3
                                        ;     Child Loop BB17_169 Depth 2
                                        ;       Child Loop BB17_172 Depth 3
                                        ;         Child Loop BB17_174 Depth 4
                                        ;       Child Loop BB17_177 Depth 3
                                        ;         Child Loop BB17_179 Depth 4
                                        ;     Child Loop BB17_186 Depth 2
                                        ;       Child Loop BB17_188 Depth 3
                                        ;     Child Loop BB17_196 Depth 2
                                        ;       Child Loop BB17_199 Depth 3
	s_wait_storecnt 0x0
	s_and_saveexec_b32 s3, s0
	s_cbranch_execz .LBB17_165
; %bb.156:                              ;   in Loop: Header=BB17_155 Depth=1
	v_dual_mov_b32 v11, v5 :: v_dual_mov_b32 v12, v4
	v_mov_b32_e32 v13, v1
	s_mul_i32 s14, s4, s29
	s_mov_b32 s15, 0
	s_branch .LBB17_158
.LBB17_157:                             ;   in Loop: Header=BB17_158 Depth=2
	s_or_b32 exec_lo, exec_lo, s18
	v_dual_add_nc_u32 v13, 16, v13 :: v_dual_add_nc_u32 v12, s13, v12
	v_add_nc_u32_e32 v11, 0x80, v11
	s_delay_alu instid0(VALU_DEP_2) | instskip(SKIP_1) | instid1(SALU_CYCLE_1)
	v_cmp_le_i32_e32 vcc_lo, s29, v13
	s_or_b32 s15, vcc_lo, s15
	s_and_not1_b32 exec_lo, exec_lo, s15
	s_cbranch_execz .LBB17_165
.LBB17_158:                             ;   Parent Loop BB17_155 Depth=1
                                        ; =>  This Loop Header: Depth=2
                                        ;       Child Loop BB17_161 Depth 3
	s_and_saveexec_b32 s18, s2
	s_cbranch_execz .LBB17_157
; %bb.159:                              ;   in Loop: Header=BB17_158 Depth=2
	v_dual_mov_b32 v14, v11 :: v_dual_mov_b32 v15, v2
	s_mov_b32 s19, 0
	s_branch .LBB17_161
.LBB17_160:                             ;   in Loop: Header=BB17_161 Depth=3
	global_load_b64 v[16:17], v16, s[16:17] scale_offset
	v_add_nc_u32_e32 v15, 4, v15
	s_delay_alu instid0(VALU_DEP_1)
	v_cmp_le_i32_e32 vcc_lo, s29, v15
	s_or_b32 s19, vcc_lo, s19
	s_wait_loadcnt 0x0
	ds_store_b64 v14, v[16:17]
	v_add_nc_u32_e32 v14, 0x220, v14
	s_wait_xcnt 0x0
	s_and_not1_b32 exec_lo, exec_lo, s19
	s_cbranch_execz .LBB17_157
.LBB17_161:                             ;   Parent Loop BB17_155 Depth=1
                                        ;     Parent Loop BB17_158 Depth=2
                                        ; =>    This Inner Loop Header: Depth=3
	s_and_b32 vcc_lo, exec_lo, s5
	s_cbranch_vccz .LBB17_163
; %bb.162:                              ;   in Loop: Header=BB17_161 Depth=3
	v_add_nc_u32_e32 v16, s14, v15
	s_delay_alu instid0(VALU_DEP_1)
	v_mad_u32 v16, v16, s29, v13
	s_cbranch_execnz .LBB17_160
	s_branch .LBB17_164
.LBB17_163:                             ;   in Loop: Header=BB17_161 Depth=3
                                        ; implicit-def: $vgpr16
.LBB17_164:                             ;   in Loop: Header=BB17_161 Depth=3
	v_add_nc_u32_e32 v16, v12, v15
	s_branch .LBB17_160
.LBB17_165:                             ;   in Loop: Header=BB17_155 Depth=1
	s_or_b32 exec_lo, exec_lo, s3
	s_delay_alu instid0(SALU_CYCLE_1)
	s_and_not1_b32 vcc_lo, exec_lo, s6
	s_wait_dscnt 0x0
	s_cbranch_vccnz .LBB17_189
; %bb.166:                              ;   in Loop: Header=BB17_155 Depth=1
	s_and_not1_b32 vcc_lo, exec_lo, s7
	s_mov_b32 s3, 0
	s_cbranch_vccnz .LBB17_180
; %bb.167:                              ;   in Loop: Header=BB17_155 Depth=1
	v_dual_mov_b32 v11, v9 :: v_dual_mov_b32 v12, v8
	v_dual_mov_b32 v13, v7 :: v_dual_mov_b32 v14, v6
	s_mov_b32 s14, 0
	s_branch .LBB17_169
.LBB17_168:                             ;   in Loop: Header=BB17_169 Depth=2
	s_or_b32 exec_lo, exec_lo, s15
	v_dual_add_nc_u32 v14, 16, v14 :: v_dual_add_nc_u32 v11, 16, v11
	v_add_nc_u32_e32 v13, 0x120, v13
	v_add_nc_u32_e32 v12, 0x120, v12
	s_add_co_i32 s14, s14, 2
	s_mov_b32 s3, s8
	s_cmp_eq_u32 s14, s8
	s_cbranch_scc1 .LBB17_180
.LBB17_169:                             ;   Parent Loop BB17_155 Depth=1
                                        ; =>  This Loop Header: Depth=2
                                        ;       Child Loop BB17_172 Depth 3
                                        ;         Child Loop BB17_174 Depth 4
                                        ;       Child Loop BB17_177 Depth 3
                                        ;         Child Loop BB17_179 Depth 4
	s_and_saveexec_b32 s15, s0
	s_cbranch_execz .LBB17_168
; %bb.170:                              ;   in Loop: Header=BB17_169 Depth=2
	v_dual_mov_b32 v16, v14 :: v_dual_add_nc_u32 v15, s14, v3
	v_mov_b32_e32 v17, v1
	s_lshl_b32 s18, s14, 3
	s_mov_b32 s19, 0
	s_addk_co_i32 s18, 0x880
	v_cmp_gt_i32_e32 vcc_lo, s29, v15
	s_branch .LBB17_172
.LBB17_171:                             ;   in Loop: Header=BB17_172 Depth=3
	s_or_b32 exec_lo, exec_lo, s20
	v_add_nc_u32_e32 v17, 16, v17
	v_add_nc_u32_e32 v16, 0x880, v16
	s_delay_alu instid0(VALU_DEP_2) | instskip(SKIP_1) | instid1(SALU_CYCLE_1)
	v_cmp_le_i32_e64 s3, s29, v17
	s_or_b32 s19, s3, s19
	s_and_not1_b32 exec_lo, exec_lo, s19
	s_cbranch_execz .LBB17_175
.LBB17_172:                             ;   Parent Loop BB17_155 Depth=1
                                        ;     Parent Loop BB17_169 Depth=2
                                        ; =>    This Loop Header: Depth=3
                                        ;         Child Loop BB17_174 Depth 4
	s_and_saveexec_b32 s20, vcc_lo
	s_cbranch_execz .LBB17_171
; %bb.173:                              ;   in Loop: Header=BB17_172 Depth=3
	v_mad_u32 v18, 0x88, v17, s18
	v_dual_mov_b32 v19, v13 :: v_dual_mov_b32 v20, v16
	v_mov_b32_e32 v21, v15
	s_mov_b32 s21, 0
.LBB17_174:                             ;   Parent Loop BB17_155 Depth=1
                                        ;     Parent Loop BB17_169 Depth=2
                                        ;       Parent Loop BB17_172 Depth=3
                                        ; =>      This Inner Loop Header: Depth=4
	ds_load_b64 v[22:23], v18
	ds_load_b64 v[24:25], v19
	ds_load_b64 v[26:27], v20
	v_dual_add_nc_u32 v21, 4, v21 :: v_dual_add_nc_u32 v19, 32, v19
	s_wait_dscnt 0x0
	v_pk_fma_f32 v[26:27], v[24:25], v[22:23], v[26:27] op_sel_hi:[1,0,1] neg_lo:[1,0,0] neg_hi:[1,0,0]
	s_delay_alu instid0(VALU_DEP_1) | instskip(SKIP_4) | instid1(SALU_CYCLE_1)
	v_pk_fma_f32 v[22:23], v[24:25], v[22:23], v[26:27] op_sel:[1,1,0] op_sel_hi:[0,1,1] neg_hi:[1,0,0]
	ds_store_b64 v20, v[22:23]
	v_add_nc_u32_e32 v20, 32, v20
	v_cmp_le_i32_e64 s3, s29, v21
	s_or_b32 s21, s3, s21
	s_and_not1_b32 exec_lo, exec_lo, s21
	s_cbranch_execnz .LBB17_174
	s_branch .LBB17_171
.LBB17_175:                             ;   in Loop: Header=BB17_169 Depth=2
	s_or_b32 exec_lo, exec_lo, s19
	v_add3_u32 v15, v3, s14, 1
	v_dual_mov_b32 v16, v11 :: v_dual_mov_b32 v17, v1
	s_mov_b32 s19, 0
	s_delay_alu instid0(VALU_DEP_2)
	v_cmp_gt_i32_e32 vcc_lo, s29, v15
	s_branch .LBB17_177
.LBB17_176:                             ;   in Loop: Header=BB17_177 Depth=3
	s_or_b32 exec_lo, exec_lo, s20
	v_add_nc_u32_e32 v17, 16, v17
	v_add_nc_u32_e32 v16, 0x880, v16
	s_delay_alu instid0(VALU_DEP_2) | instskip(SKIP_1) | instid1(SALU_CYCLE_1)
	v_cmp_le_i32_e64 s3, s29, v17
	s_or_b32 s19, s3, s19
	s_and_not1_b32 exec_lo, exec_lo, s19
	s_cbranch_execz .LBB17_168
.LBB17_177:                             ;   Parent Loop BB17_155 Depth=1
                                        ;     Parent Loop BB17_169 Depth=2
                                        ; =>    This Loop Header: Depth=3
                                        ;         Child Loop BB17_179 Depth 4
	s_and_saveexec_b32 s20, vcc_lo
	s_cbranch_execz .LBB17_176
; %bb.178:                              ;   in Loop: Header=BB17_177 Depth=3
	v_mad_u32 v18, 0x88, v17, s18
	v_dual_mov_b32 v19, v16 :: v_dual_mov_b32 v20, v12
	v_mov_b32_e32 v21, v15
	s_mov_b32 s21, 0
.LBB17_179:                             ;   Parent Loop BB17_155 Depth=1
                                        ;     Parent Loop BB17_169 Depth=2
                                        ;       Parent Loop BB17_177 Depth=3
                                        ; =>      This Inner Loop Header: Depth=4
	ds_load_b64 v[22:23], v18 offset:8
	ds_load_b64 v[24:25], v20
	ds_load_b64 v[26:27], v19
	v_dual_add_nc_u32 v21, 4, v21 :: v_dual_add_nc_u32 v20, 32, v20
	s_delay_alu instid0(VALU_DEP_1) | instskip(SKIP_3) | instid1(VALU_DEP_1)
	v_cmp_le_i32_e64 s3, s29, v21
	s_or_b32 s21, s3, s21
	s_wait_dscnt 0x0
	v_pk_fma_f32 v[26:27], v[24:25], v[22:23], v[26:27] op_sel_hi:[1,0,1] neg_lo:[1,0,0] neg_hi:[1,0,0]
	v_pk_fma_f32 v[22:23], v[24:25], v[22:23], v[26:27] op_sel:[1,1,0] op_sel_hi:[0,1,1] neg_hi:[1,0,0]
	ds_store_b64 v19, v[22:23]
	v_add_nc_u32_e32 v19, 32, v19
	s_and_not1_b32 exec_lo, exec_lo, s21
	s_cbranch_execnz .LBB17_179
	s_branch .LBB17_176
.LBB17_180:                             ;   in Loop: Header=BB17_155 Depth=1
	s_and_not1_b32 vcc_lo, exec_lo, s9
	s_mov_b32 s15, -1
	s_cbranch_vccnz .LBB17_190
; %bb.181:                              ;   in Loop: Header=BB17_155 Depth=1
	s_and_saveexec_b32 s14, s1
	s_delay_alu instid0(SALU_CYCLE_1)
	s_xor_b32 s14, exec_lo, s14
	s_cbranch_execz .LBB17_183
; %bb.182:                              ;   in Loop: Header=BB17_155 Depth=1
	s_wait_dscnt 0x0
.LBB17_183:                             ;   in Loop: Header=BB17_155 Depth=1
	s_or_saveexec_b32 s14, s14
	s_mov_b32 s15, 0
	s_xor_b32 exec_lo, exec_lo, s14
	s_cbranch_execz .LBB17_192
; %bb.184:                              ;   in Loop: Header=BB17_155 Depth=1
	v_mad_u32 v12, 0x90, s3, v7
	v_dual_add_nc_u32 v11, s3, v3 :: v_dual_add_nc_u32 v13, s3, v2
	v_mov_b32_e32 v14, v1
	s_lshl_b32 s18, s3, 3
	s_delay_alu instid0(SALU_CYCLE_1) | instskip(NEXT) | instid1(VALU_DEP_2)
	s_addk_co_i32 s18, 0x880
	v_lshl_add_u32 v13, v13, 3, v10
	v_cmp_gt_i32_e32 vcc_lo, s29, v11
	s_branch .LBB17_186
.LBB17_185:                             ;   in Loop: Header=BB17_186 Depth=2
	s_or_b32 exec_lo, exec_lo, s19
	v_add_nc_u32_e32 v14, 16, v14
	v_add_nc_u32_e32 v13, 0x880, v13
	s_delay_alu instid0(VALU_DEP_2) | instskip(SKIP_1) | instid1(SALU_CYCLE_1)
	v_cmp_le_i32_e64 s3, s29, v14
	s_or_b32 s15, s3, s15
	s_and_not1_b32 exec_lo, exec_lo, s15
	s_cbranch_execz .LBB17_191
.LBB17_186:                             ;   Parent Loop BB17_155 Depth=1
                                        ; =>  This Loop Header: Depth=2
                                        ;       Child Loop BB17_188 Depth 3
	s_and_saveexec_b32 s19, vcc_lo
	s_cbranch_execz .LBB17_185
; %bb.187:                              ;   in Loop: Header=BB17_186 Depth=2
	v_mad_u32 v15, 0x88, v14, s18
	v_dual_mov_b32 v16, v12 :: v_dual_mov_b32 v17, v13
	v_mov_b32_e32 v18, v11
	s_mov_b32 s20, 0
.LBB17_188:                             ;   Parent Loop BB17_155 Depth=1
                                        ;     Parent Loop BB17_186 Depth=2
                                        ; =>    This Inner Loop Header: Depth=3
	ds_load_b64 v[20:21], v15
	ds_load_b64 v[22:23], v16
	;; [unrolled: 1-line block ×3, first 2 shown]
	v_dual_add_nc_u32 v18, 4, v18 :: v_dual_add_nc_u32 v16, 32, v16
	s_wait_dscnt 0x0
	v_pk_fma_f32 v[24:25], v[22:23], v[20:21], v[24:25] op_sel_hi:[1,0,1] neg_lo:[1,0,0] neg_hi:[1,0,0]
	s_delay_alu instid0(VALU_DEP_1) | instskip(SKIP_4) | instid1(SALU_CYCLE_1)
	v_pk_fma_f32 v[20:21], v[22:23], v[20:21], v[24:25] op_sel:[1,1,0] op_sel_hi:[0,1,1] neg_hi:[1,0,0]
	ds_store_b64 v17, v[20:21]
	v_add_nc_u32_e32 v17, 32, v17
	v_cmp_le_i32_e64 s3, s29, v18
	s_or_b32 s20, s3, s20
	s_and_not1_b32 exec_lo, exec_lo, s20
	s_cbranch_execnz .LBB17_188
	s_branch .LBB17_185
.LBB17_189:                             ;   in Loop: Header=BB17_155 Depth=1
	s_mov_b32 s15, -1
.LBB17_190:                             ;   in Loop: Header=BB17_155 Depth=1
	s_delay_alu instid0(SALU_CYCLE_1) | instskip(NEXT) | instid1(SALU_CYCLE_1)
	s_and_saveexec_b32 s3, s15
	s_xor_b32 s3, exec_lo, s3
	s_cbranch_execz .LBB17_154
	s_branch .LBB17_193
.LBB17_191:                             ;   in Loop: Header=BB17_155 Depth=1
	s_or_b32 exec_lo, exec_lo, s15
	s_delay_alu instid0(SALU_CYCLE_1)
	s_mov_b32 s15, exec_lo
.LBB17_192:                             ;   in Loop: Header=BB17_155 Depth=1
	s_or_b32 exec_lo, exec_lo, s14
	s_and_saveexec_b32 s3, s15
	s_delay_alu instid0(SALU_CYCLE_1)
	s_xor_b32 s3, exec_lo, s3
	s_cbranch_execz .LBB17_154
.LBB17_193:                             ;   in Loop: Header=BB17_155 Depth=1
	s_wait_dscnt 0x0
	s_and_saveexec_b32 s14, s0
	s_cbranch_execz .LBB17_153
; %bb.194:                              ;   in Loop: Header=BB17_155 Depth=1
	v_dual_mov_b32 v11, v5 :: v_dual_mov_b32 v12, v4
	v_mov_b32_e32 v13, v1
	s_mul_i32 s15, s4, s29
	s_mov_b32 s18, 0
	s_branch .LBB17_196
.LBB17_195:                             ;   in Loop: Header=BB17_196 Depth=2
	s_or_b32 exec_lo, exec_lo, s19
	v_dual_add_nc_u32 v13, 16, v13 :: v_dual_add_nc_u32 v12, s13, v12
	v_add_nc_u32_e32 v11, 0x80, v11
	s_delay_alu instid0(VALU_DEP_2) | instskip(SKIP_1) | instid1(SALU_CYCLE_1)
	v_cmp_le_i32_e32 vcc_lo, s29, v13
	s_or_b32 s18, vcc_lo, s18
	s_and_not1_b32 exec_lo, exec_lo, s18
	s_cbranch_execz .LBB17_153
.LBB17_196:                             ;   Parent Loop BB17_155 Depth=1
                                        ; =>  This Loop Header: Depth=2
                                        ;       Child Loop BB17_199 Depth 3
	s_and_saveexec_b32 s19, s2
	s_cbranch_execz .LBB17_195
; %bb.197:                              ;   in Loop: Header=BB17_196 Depth=2
	v_dual_mov_b32 v14, v11 :: v_dual_mov_b32 v15, v2
	s_mov_b32 s20, 0
	s_branch .LBB17_199
.LBB17_198:                             ;   in Loop: Header=BB17_199 Depth=3
	ds_load_b64 v[18:19], v14
	v_add_nc_u32_e32 v15, 4, v15
	v_add_nc_u32_e32 v14, 0x220, v14
	s_delay_alu instid0(VALU_DEP_2)
	v_cmp_le_i32_e32 vcc_lo, s29, v15
	s_or_b32 s20, vcc_lo, s20
	s_wait_dscnt 0x0
	global_store_b64 v16, v[18:19], s[16:17] scale_offset
	s_wait_xcnt 0x0
	s_and_not1_b32 exec_lo, exec_lo, s20
	s_cbranch_execz .LBB17_195
.LBB17_199:                             ;   Parent Loop BB17_155 Depth=1
                                        ;     Parent Loop BB17_196 Depth=2
                                        ; =>    This Inner Loop Header: Depth=3
	s_and_b32 vcc_lo, exec_lo, s5
	s_cbranch_vccz .LBB17_201
; %bb.200:                              ;   in Loop: Header=BB17_199 Depth=3
	v_add_nc_u32_e32 v16, s15, v15
	s_delay_alu instid0(VALU_DEP_1)
	v_mad_u32 v16, v16, s29, v13
	s_cbranch_execnz .LBB17_198
	s_branch .LBB17_202
.LBB17_201:                             ;   in Loop: Header=BB17_199 Depth=3
                                        ; implicit-def: $vgpr16
.LBB17_202:                             ;   in Loop: Header=BB17_199 Depth=3
	v_add_nc_u32_e32 v16, v12, v15
	s_branch .LBB17_198
.LBB17_203:
	v_and_b32_e32 v0, 0xfffff, v0
	s_mov_b32 s0, exec_lo
	s_delay_alu instid0(VALU_DEP_1)
	v_cmpx_eq_u32_e32 0, v0
	s_cbranch_execz .LBB17_207
; %bb.204:
	v_dual_mov_b32 v0, 0 :: v_dual_mov_b32 v1, 1
	s_add_nc_u64 s[0:1], s[24:25], s[26:27]
	s_and_not1_b32 vcc_lo, exec_lo, s11
	global_wb scope:SCOPE_DEV
	s_wait_storecnt 0x0
	s_wait_loadcnt_dscnt 0x0
	global_store_b32 v0, v1, s[0:1] scope:SCOPE_DEV
	s_cbranch_vccnz .LBB17_207
; %bb.205:
	s_wait_xcnt 0x0
	v_mbcnt_lo_u32_b32 v0, exec_lo, 0
	s_delay_alu instid0(VALU_DEP_1)
	v_cmp_eq_u32_e32 vcc_lo, 0, v0
	s_and_b32 exec_lo, exec_lo, vcc_lo
	s_cbranch_execz .LBB17_207
; %bb.206:
	s_add_co_i32 s0, s28, s10
	s_delay_alu instid0(SALU_CYCLE_1)
	v_dual_mov_b32 v0, 0 :: v_dual_mov_b32 v1, s0
	global_atomic_min_i32 v0, v1, s[22:23] scope:SCOPE_DEV
.LBB17_207:
	s_endpgm
	.section	.rodata,"a",@progbits
	.p2align	6, 0x0
	.amdhsa_kernel _ZN9rocsparseL12bsrilu0_9_32ILj64ELj64ELj16E21rocsparse_complex_numIfEEEv20rocsparse_direction_iPKiS5_PT2_S5_iPiS5_S8_21rocsparse_index_base_imNS_24const_host_device_scalarIfEENSA_IdEENSA_IS6_EEb
		.amdhsa_group_segment_fixed_size 4352
		.amdhsa_private_segment_fixed_size 0
		.amdhsa_kernarg_size 116
		.amdhsa_user_sgpr_count 2
		.amdhsa_user_sgpr_dispatch_ptr 0
		.amdhsa_user_sgpr_queue_ptr 0
		.amdhsa_user_sgpr_kernarg_segment_ptr 1
		.amdhsa_user_sgpr_dispatch_id 0
		.amdhsa_user_sgpr_kernarg_preload_length 0
		.amdhsa_user_sgpr_kernarg_preload_offset 0
		.amdhsa_user_sgpr_private_segment_size 0
		.amdhsa_wavefront_size32 1
		.amdhsa_uses_dynamic_stack 0
		.amdhsa_enable_private_segment 0
		.amdhsa_system_sgpr_workgroup_id_x 1
		.amdhsa_system_sgpr_workgroup_id_y 0
		.amdhsa_system_sgpr_workgroup_id_z 0
		.amdhsa_system_sgpr_workgroup_info 0
		.amdhsa_system_vgpr_workitem_id 1
		.amdhsa_next_free_vgpr 62
		.amdhsa_next_free_sgpr 54
		.amdhsa_named_barrier_count 0
		.amdhsa_reserve_vcc 1
		.amdhsa_float_round_mode_32 0
		.amdhsa_float_round_mode_16_64 0
		.amdhsa_float_denorm_mode_32 3
		.amdhsa_float_denorm_mode_16_64 3
		.amdhsa_fp16_overflow 0
		.amdhsa_memory_ordered 1
		.amdhsa_forward_progress 1
		.amdhsa_inst_pref_size 55
		.amdhsa_round_robin_scheduling 0
		.amdhsa_exception_fp_ieee_invalid_op 0
		.amdhsa_exception_fp_denorm_src 0
		.amdhsa_exception_fp_ieee_div_zero 0
		.amdhsa_exception_fp_ieee_overflow 0
		.amdhsa_exception_fp_ieee_underflow 0
		.amdhsa_exception_fp_ieee_inexact 0
		.amdhsa_exception_int_div_zero 0
	.end_amdhsa_kernel
	.section	.text._ZN9rocsparseL12bsrilu0_9_32ILj64ELj64ELj16E21rocsparse_complex_numIfEEEv20rocsparse_direction_iPKiS5_PT2_S5_iPiS5_S8_21rocsparse_index_base_imNS_24const_host_device_scalarIfEENSA_IdEENSA_IS6_EEb,"axG",@progbits,_ZN9rocsparseL12bsrilu0_9_32ILj64ELj64ELj16E21rocsparse_complex_numIfEEEv20rocsparse_direction_iPKiS5_PT2_S5_iPiS5_S8_21rocsparse_index_base_imNS_24const_host_device_scalarIfEENSA_IdEENSA_IS6_EEb,comdat
.Lfunc_end17:
	.size	_ZN9rocsparseL12bsrilu0_9_32ILj64ELj64ELj16E21rocsparse_complex_numIfEEEv20rocsparse_direction_iPKiS5_PT2_S5_iPiS5_S8_21rocsparse_index_base_imNS_24const_host_device_scalarIfEENSA_IdEENSA_IS6_EEb, .Lfunc_end17-_ZN9rocsparseL12bsrilu0_9_32ILj64ELj64ELj16E21rocsparse_complex_numIfEEEv20rocsparse_direction_iPKiS5_PT2_S5_iPiS5_S8_21rocsparse_index_base_imNS_24const_host_device_scalarIfEENSA_IdEENSA_IS6_EEb
                                        ; -- End function
	.set _ZN9rocsparseL12bsrilu0_9_32ILj64ELj64ELj16E21rocsparse_complex_numIfEEEv20rocsparse_direction_iPKiS5_PT2_S5_iPiS5_S8_21rocsparse_index_base_imNS_24const_host_device_scalarIfEENSA_IdEENSA_IS6_EEb.num_vgpr, 62
	.set _ZN9rocsparseL12bsrilu0_9_32ILj64ELj64ELj16E21rocsparse_complex_numIfEEEv20rocsparse_direction_iPKiS5_PT2_S5_iPiS5_S8_21rocsparse_index_base_imNS_24const_host_device_scalarIfEENSA_IdEENSA_IS6_EEb.num_agpr, 0
	.set _ZN9rocsparseL12bsrilu0_9_32ILj64ELj64ELj16E21rocsparse_complex_numIfEEEv20rocsparse_direction_iPKiS5_PT2_S5_iPiS5_S8_21rocsparse_index_base_imNS_24const_host_device_scalarIfEENSA_IdEENSA_IS6_EEb.numbered_sgpr, 54
	.set _ZN9rocsparseL12bsrilu0_9_32ILj64ELj64ELj16E21rocsparse_complex_numIfEEEv20rocsparse_direction_iPKiS5_PT2_S5_iPiS5_S8_21rocsparse_index_base_imNS_24const_host_device_scalarIfEENSA_IdEENSA_IS6_EEb.num_named_barrier, 0
	.set _ZN9rocsparseL12bsrilu0_9_32ILj64ELj64ELj16E21rocsparse_complex_numIfEEEv20rocsparse_direction_iPKiS5_PT2_S5_iPiS5_S8_21rocsparse_index_base_imNS_24const_host_device_scalarIfEENSA_IdEENSA_IS6_EEb.private_seg_size, 0
	.set _ZN9rocsparseL12bsrilu0_9_32ILj64ELj64ELj16E21rocsparse_complex_numIfEEEv20rocsparse_direction_iPKiS5_PT2_S5_iPiS5_S8_21rocsparse_index_base_imNS_24const_host_device_scalarIfEENSA_IdEENSA_IS6_EEb.uses_vcc, 1
	.set _ZN9rocsparseL12bsrilu0_9_32ILj64ELj64ELj16E21rocsparse_complex_numIfEEEv20rocsparse_direction_iPKiS5_PT2_S5_iPiS5_S8_21rocsparse_index_base_imNS_24const_host_device_scalarIfEENSA_IdEENSA_IS6_EEb.uses_flat_scratch, 0
	.set _ZN9rocsparseL12bsrilu0_9_32ILj64ELj64ELj16E21rocsparse_complex_numIfEEEv20rocsparse_direction_iPKiS5_PT2_S5_iPiS5_S8_21rocsparse_index_base_imNS_24const_host_device_scalarIfEENSA_IdEENSA_IS6_EEb.has_dyn_sized_stack, 0
	.set _ZN9rocsparseL12bsrilu0_9_32ILj64ELj64ELj16E21rocsparse_complex_numIfEEEv20rocsparse_direction_iPKiS5_PT2_S5_iPiS5_S8_21rocsparse_index_base_imNS_24const_host_device_scalarIfEENSA_IdEENSA_IS6_EEb.has_recursion, 0
	.set _ZN9rocsparseL12bsrilu0_9_32ILj64ELj64ELj16E21rocsparse_complex_numIfEEEv20rocsparse_direction_iPKiS5_PT2_S5_iPiS5_S8_21rocsparse_index_base_imNS_24const_host_device_scalarIfEENSA_IdEENSA_IS6_EEb.has_indirect_call, 0
	.section	.AMDGPU.csdata,"",@progbits
; Kernel info:
; codeLenInByte = 6928
; TotalNumSgprs: 56
; NumVgprs: 62
; ScratchSize: 0
; MemoryBound: 0
; FloatMode: 240
; IeeeMode: 1
; LDSByteSize: 4352 bytes/workgroup (compile time only)
; SGPRBlocks: 0
; VGPRBlocks: 3
; NumSGPRsForWavesPerEU: 56
; NumVGPRsForWavesPerEU: 62
; NamedBarCnt: 0
; Occupancy: 16
; WaveLimiterHint : 1
; COMPUTE_PGM_RSRC2:SCRATCH_EN: 0
; COMPUTE_PGM_RSRC2:USER_SGPR: 2
; COMPUTE_PGM_RSRC2:TRAP_HANDLER: 0
; COMPUTE_PGM_RSRC2:TGID_X_EN: 1
; COMPUTE_PGM_RSRC2:TGID_Y_EN: 0
; COMPUTE_PGM_RSRC2:TGID_Z_EN: 0
; COMPUTE_PGM_RSRC2:TIDIG_COMP_CNT: 1
	.section	.text._ZN9rocsparseL12bsrilu0_9_32ILj64ELj64ELj32E21rocsparse_complex_numIfEEEv20rocsparse_direction_iPKiS5_PT2_S5_iPiS5_S8_21rocsparse_index_base_imNS_24const_host_device_scalarIfEENSA_IdEENSA_IS6_EEb,"axG",@progbits,_ZN9rocsparseL12bsrilu0_9_32ILj64ELj64ELj32E21rocsparse_complex_numIfEEEv20rocsparse_direction_iPKiS5_PT2_S5_iPiS5_S8_21rocsparse_index_base_imNS_24const_host_device_scalarIfEENSA_IdEENSA_IS6_EEb,comdat
	.globl	_ZN9rocsparseL12bsrilu0_9_32ILj64ELj64ELj32E21rocsparse_complex_numIfEEEv20rocsparse_direction_iPKiS5_PT2_S5_iPiS5_S8_21rocsparse_index_base_imNS_24const_host_device_scalarIfEENSA_IdEENSA_IS6_EEb ; -- Begin function _ZN9rocsparseL12bsrilu0_9_32ILj64ELj64ELj32E21rocsparse_complex_numIfEEEv20rocsparse_direction_iPKiS5_PT2_S5_iPiS5_S8_21rocsparse_index_base_imNS_24const_host_device_scalarIfEENSA_IdEENSA_IS6_EEb
	.p2align	8
	.type	_ZN9rocsparseL12bsrilu0_9_32ILj64ELj64ELj32E21rocsparse_complex_numIfEEEv20rocsparse_direction_iPKiS5_PT2_S5_iPiS5_S8_21rocsparse_index_base_imNS_24const_host_device_scalarIfEENSA_IdEENSA_IS6_EEb,@function
_ZN9rocsparseL12bsrilu0_9_32ILj64ELj64ELj32E21rocsparse_complex_numIfEEEv20rocsparse_direction_iPKiS5_PT2_S5_iPiS5_S8_21rocsparse_index_base_imNS_24const_host_device_scalarIfEENSA_IdEENSA_IS6_EEb: ; @_ZN9rocsparseL12bsrilu0_9_32ILj64ELj64ELj32E21rocsparse_complex_numIfEEEv20rocsparse_direction_iPKiS5_PT2_S5_iPiS5_S8_21rocsparse_index_base_imNS_24const_host_device_scalarIfEENSA_IdEENSA_IS6_EEb
; %bb.0:
	s_clause 0x2
	s_load_b32 s2, s[0:1], 0x70
	s_load_b64 s[10:11], s[0:1], 0x48
	s_load_b256 s[20:27], s[0:1], 0x50
	s_wait_kmcnt 0x0
	s_bitcmp1_b32 s2, 0
	s_cselect_b32 s4, -1, 0
	s_cmp_eq_u32 s11, 0
	s_cselect_b32 s2, -1, 0
	s_cmp_lg_u32 s11, 0
	s_cselect_b32 s5, -1, 0
	s_or_b32 s7, s2, s4
	s_delay_alu instid0(SALU_CYCLE_1)
	s_xor_b32 s6, s7, -1
	s_and_b32 s2, s2, exec_lo
	s_cselect_b32 s3, 0, s25
	s_cselect_b32 s2, 0, s24
	;; [unrolled: 1-line block ×3, first 2 shown]
	s_and_b32 vcc_lo, exec_lo, s7
	s_cbranch_vccnz .LBB18_2
; %bb.1:
	s_load_b32 s37, s[22:23], 0x0
	s_mov_b64 s[2:3], s[24:25]
.LBB18_2:
	s_delay_alu instid0(SALU_CYCLE_1)
	v_mov_b64_e32 v[2:3], s[2:3]
	s_and_not1_b32 vcc_lo, exec_lo, s6
	s_cbranch_vccnz .LBB18_4
; %bb.3:
	v_mov_b32_e32 v1, 0
	flat_load_b64 v[2:3], v1, s[24:25]
.LBB18_4:
	s_wait_xcnt 0x0
	v_cndmask_b32_e64 v1, 0, 1, s5
	s_mov_b32 s35, 0
	s_and_not1_b32 vcc_lo, exec_lo, s5
	s_mov_b32 s36, s35
	s_cbranch_vccnz .LBB18_10
; %bb.5:
	s_xor_b32 s2, s4, -1
	s_mov_b32 s35, s26
	v_cndmask_b32_e64 v4, 0, 1, s2
	s_and_not1_b32 vcc_lo, exec_lo, s2
	s_cbranch_vccnz .LBB18_7
; %bb.6:
	s_load_b32 s35, s[26:27], 0x0
.LBB18_7:
	s_delay_alu instid0(VALU_DEP_1)
	v_cmp_ne_u32_e32 vcc_lo, 1, v4
	s_cbranch_vccnz .LBB18_9
; %bb.8:
	s_wait_xcnt 0x0
	s_load_b32 s27, s[26:27], 0x4
.LBB18_9:
	s_wait_kmcnt 0x0
	s_mov_b32 s36, s27
.LBB18_10:
	s_load_b128 s[24:27], s[0:1], 0x30
	s_bfe_u32 s2, ttmp6, 0x4000c
	s_and_b32 s3, ttmp6, 15
	s_add_co_i32 s2, s2, 1
	s_getreg_b32 s4, hwreg(HW_REG_IB_STS2, 6, 4)
	s_mul_i32 s2, ttmp9, s2
	s_mov_b32 s11, 0
	s_add_co_i32 s3, s3, s2
	s_cmp_eq_u32 s4, 0
	s_cselect_b32 s2, ttmp9, s3
	s_load_b64 s[22:23], s[0:1], 0x40
	s_wait_kmcnt 0x0
	s_load_b32 s28, s[26:27], s2 offset:0x0 scale_offset
	s_load_b256 s[12:19], s[0:1], 0x8
	s_wait_kmcnt 0x0
	s_ashr_i32 s29, s28, 31
	s_delay_alu instid0(SALU_CYCLE_1) | instskip(NEXT) | instid1(SALU_CYCLE_1)
	s_lshl_b64 s[26:27], s[28:29], 2
	s_add_nc_u64 s[2:3], s[18:19], s[26:27]
	s_load_b32 s34, s[2:3], 0x0
	s_wait_kmcnt 0x0
	s_cmp_eq_u32 s34, -1
	s_cbranch_scc1 .LBB18_112
; %bb.11:
	s_add_nc_u64 s[2:3], s[12:13], s[26:27]
	s_load_b64 s[4:5], s[2:3], 0x0
	s_clause 0x1
	s_load_b64 s[30:31], s[0:1], 0x0
	s_load_b32 s29, s[0:1], 0x28
	s_wait_kmcnt 0x0
	s_sub_co_i32 s38, s4, s10
	s_sub_co_i32 s33, s5, s10
	s_cmp_ge_i32 s38, s34
	s_cbranch_scc1 .LBB18_101
; %bb.12:
	v_and_b32_e32 v23, 0x3ff, v0
	v_bfe_u32 v22, v0, 10, 10
	s_cmp_lg_u32 s30, 0
	s_mul_i32 s41, s29, s29
	s_cselect_b32 s39, -1, 0
	v_mad_u32 v8, s29, s38, v23
	v_dual_lshlrev_b32 v4, 5, v22 :: v_dual_lshlrev_b32 v6, 3, v23
	v_cmp_gt_i32_e64 s0, s29, v23
	v_cmp_le_i32_e64 s1, s29, v23
	v_cmp_gt_i32_e64 s2, s29, v22
	s_delay_alu instid0(VALU_DEP_4)
	v_add3_u32 v4, v4, v23, s38
	v_add_nc_u32_e32 v24, 1, v22
	v_add_nc_u32_e32 v26, 0x2100, v6
	v_mad_u32_u24 v27, 0x108, v22, v6
	v_cmp_eq_u32_e64 s3, 0, v22
	v_mul_lo_u32 v29, s29, v8
	v_dual_ashrrev_i32 v5, 31, v4 :: v_dual_add_nc_u32 v25, 3, v22
	v_cmp_gt_i32_e64 s4, s33, v4
	v_mad_u32_u24 v28, 0x108, v22, v26
	v_mul_u32_u24_e32 v30, 0x108, v22
	s_delay_alu instid0(VALU_DEP_4)
	v_lshl_add_u64 v[6:7], v[4:5], 2, s[14:15]
	v_sub_nc_u32_e32 v5, -2, v22
	v_dual_mov_b32 v34, 0 :: v_dual_add_nc_u32 v31, 0x2100, v27
	v_add_nc_u32_e32 v32, 0x2208, v27
	v_mad_u32_u24 v33, 0x108, v22, 0x108
	s_cmp_gt_i32 s29, 0
	s_cselect_b32 s40, -1, 0
	s_add_co_i32 s31, s31, 1
	s_lshl_b32 s42, s29, 5
	s_branch .LBB18_15
.LBB18_13:                              ;   in Loop: Header=BB18_15 Depth=1
	s_mov_b32 s11, -1
.LBB18_14:                              ;   in Loop: Header=BB18_15 Depth=1
	s_add_co_i32 s38, s38, 1
	v_add_nc_u32_e32 v29, s41, v29
	s_cmp_lt_i32 s38, s34
	s_cselect_b32 s6, -1, 0
	s_delay_alu instid0(SALU_CYCLE_1) | instskip(NEXT) | instid1(SALU_CYCLE_1)
	s_and_b32 s5, s5, s6
	s_and_b32 vcc_lo, exec_lo, s5
	s_cbranch_vccz .LBB18_101
.LBB18_15:                              ; =>This Loop Header: Depth=1
                                        ;     Child Loop BB18_18 Depth 2
                                        ;       Child Loop BB18_21 Depth 3
                                        ;     Child Loop BB18_27 Depth 2
                                        ;     Child Loop BB18_31 Depth 2
                                        ;       Child Loop BB18_34 Depth 3
                                        ;     Child Loop BB18_41 Depth 2
                                        ;       Child Loop BB18_44 Depth 3
                                        ;         Child Loop BB18_49 Depth 4
                                        ;         Child Loop BB18_53 Depth 4
                                        ;     Child Loop BB18_57 Depth 2
                                        ;       Child Loop BB18_60 Depth 3
                                        ;     Child Loop BB18_69 Depth 2
                                        ;       Child Loop BB18_74 Depth 3
                                        ;       Child Loop BB18_83 Depth 3
                                        ;         Child Loop BB18_86 Depth 4
                                        ;       Child Loop BB18_92 Depth 3
                                        ;         Child Loop BB18_95 Depth 4
                                        ;           Child Loop BB18_96 Depth 5
	s_wait_xcnt 0x0
	v_mov_b32_e32 v8, s38
	global_load_b32 v8, v8, s[14:15] scale_offset
	s_wait_loadcnt 0x0
	v_readfirstlane_b32 s5, v8
	s_wait_xcnt 0x0
	s_and_saveexec_b32 s6, s0
	s_cbranch_execz .LBB18_25
; %bb.16:                               ;   in Loop: Header=BB18_15 Depth=1
	v_dual_mov_b32 v8, v31 :: v_dual_mov_b32 v9, v29
	v_mov_b32_e32 v10, v23
	s_mul_i32 s7, s38, s29
	s_mov_b32 s8, 0
	s_branch .LBB18_18
.LBB18_17:                              ;   in Loop: Header=BB18_18 Depth=2
	s_or_b32 exec_lo, exec_lo, s9
	v_dual_add_nc_u32 v10, 32, v10 :: v_dual_add_nc_u32 v9, s42, v9
	v_add_nc_u32_e32 v8, 0x100, v8
	s_delay_alu instid0(VALU_DEP_2) | instskip(SKIP_1) | instid1(SALU_CYCLE_1)
	v_cmp_le_i32_e32 vcc_lo, s29, v10
	s_or_b32 s8, vcc_lo, s8
	s_and_not1_b32 exec_lo, exec_lo, s8
	s_cbranch_execz .LBB18_25
.LBB18_18:                              ;   Parent Loop BB18_15 Depth=1
                                        ; =>  This Loop Header: Depth=2
                                        ;       Child Loop BB18_21 Depth 3
	s_and_saveexec_b32 s9, s2
	s_cbranch_execz .LBB18_17
; %bb.19:                               ;   in Loop: Header=BB18_18 Depth=2
	v_dual_mov_b32 v11, v8 :: v_dual_mov_b32 v12, v22
	s_mov_b32 s43, 0
	s_branch .LBB18_21
.LBB18_20:                              ;   in Loop: Header=BB18_21 Depth=3
	global_load_b64 v[14:15], v13, s[16:17] scale_offset
	v_add_nc_u32_e32 v12, 2, v12
	s_delay_alu instid0(VALU_DEP_1)
	v_cmp_le_i32_e32 vcc_lo, s29, v12
	s_or_b32 s43, vcc_lo, s43
	s_wait_loadcnt 0x0
	ds_store_b64 v11, v[14:15]
	v_add_nc_u32_e32 v11, 0x210, v11
	s_wait_xcnt 0x0
	s_and_not1_b32 exec_lo, exec_lo, s43
	s_cbranch_execz .LBB18_17
.LBB18_21:                              ;   Parent Loop BB18_15 Depth=1
                                        ;     Parent Loop BB18_18 Depth=2
                                        ; =>    This Inner Loop Header: Depth=3
	s_and_b32 vcc_lo, exec_lo, s39
	s_cbranch_vccz .LBB18_23
; %bb.22:                               ;   in Loop: Header=BB18_21 Depth=3
	v_add_nc_u32_e32 v13, s7, v12
	s_delay_alu instid0(VALU_DEP_1)
	v_mad_u32 v13, v13, s29, v10
	s_cbranch_execnz .LBB18_20
	s_branch .LBB18_24
.LBB18_23:                              ;   in Loop: Header=BB18_21 Depth=3
                                        ; implicit-def: $vgpr13
.LBB18_24:                              ;   in Loop: Header=BB18_21 Depth=3
	v_add_nc_u32_e32 v13, v9, v12
	s_branch .LBB18_20
.LBB18_25:                              ;   in Loop: Header=BB18_15 Depth=1
	s_or_b32 exec_lo, exec_lo, s6
	s_sub_co_i32 s6, s5, s10
	s_delay_alu instid0(SALU_CYCLE_1)
	v_mov_b32_e32 v8, s6
	global_load_b32 v8, v8, s[18:19] scale_offset
	s_wait_loadcnt 0x0
	v_cmp_eq_u32_e32 vcc_lo, -1, v8
	v_readfirstlane_b32 s43, v8
	v_cmp_ne_u32_e64 s5, -1, v8
	s_cbranch_vccnz .LBB18_13
; %bb.26:                               ;   in Loop: Header=BB18_15 Depth=1
	s_ashr_i32 s7, s6, 31
	s_delay_alu instid0(SALU_CYCLE_1) | instskip(NEXT) | instid1(SALU_CYCLE_1)
	s_lshl_b64 s[6:7], s[6:7], 2
	s_add_nc_u64 s[8:9], s[12:13], s[6:7]
	s_add_nc_u64 s[6:7], s[24:25], s[6:7]
	global_load_b32 v8, v34, s[8:9] offset:4
	s_wait_loadcnt 0x0
	v_readfirstlane_b32 s44, v8
.LBB18_27:                              ;   Parent Loop BB18_15 Depth=1
                                        ; =>  This Inner Loop Header: Depth=2
	global_load_b32 v8, v34, s[6:7] scope:SCOPE_DEV
	s_wait_loadcnt 0x0
	v_cmp_eq_u32_e32 vcc_lo, 0, v8
	s_cbranch_vccnz .LBB18_27
; %bb.28:                               ;   in Loop: Header=BB18_15 Depth=1
	s_wait_dscnt 0x0
	global_inv scope:SCOPE_DEV
	s_wait_xcnt 0x0
	s_and_saveexec_b32 s6, s0
	s_cbranch_execz .LBB18_38
; %bb.29:                               ;   in Loop: Header=BB18_15 Depth=1
	s_mul_i32 s7, s43, s29
	s_delay_alu instid0(SALU_CYCLE_1) | instskip(SKIP_2) | instid1(VALU_DEP_2)
	v_dual_mov_b32 v10, v23 :: v_dual_add_nc_u32 v8, s7, v23
	v_mov_b32_e32 v9, v27
	s_mov_b32 s8, 0
	v_mul_lo_u32 v8, s29, v8
	s_branch .LBB18_31
.LBB18_30:                              ;   in Loop: Header=BB18_31 Depth=2
	s_or_b32 exec_lo, exec_lo, s9
	s_delay_alu instid0(VALU_DEP_1) | instskip(SKIP_1) | instid1(VALU_DEP_2)
	v_dual_add_nc_u32 v10, 32, v10 :: v_dual_add_nc_u32 v8, s42, v8
	v_add_nc_u32_e32 v9, 0x100, v9
	v_cmp_le_i32_e32 vcc_lo, s29, v10
	s_or_b32 s8, vcc_lo, s8
	s_delay_alu instid0(SALU_CYCLE_1)
	s_and_not1_b32 exec_lo, exec_lo, s8
	s_cbranch_execz .LBB18_38
.LBB18_31:                              ;   Parent Loop BB18_15 Depth=1
                                        ; =>  This Loop Header: Depth=2
                                        ;       Child Loop BB18_34 Depth 3
	s_and_saveexec_b32 s9, s2
	s_cbranch_execz .LBB18_30
; %bb.32:                               ;   in Loop: Header=BB18_31 Depth=2
	v_dual_mov_b32 v11, v9 :: v_dual_mov_b32 v12, v22
	s_mov_b32 s45, 0
	s_branch .LBB18_34
.LBB18_33:                              ;   in Loop: Header=BB18_34 Depth=3
	global_load_b64 v[14:15], v13, s[16:17] scale_offset
	v_add_nc_u32_e32 v12, 2, v12
	s_delay_alu instid0(VALU_DEP_1)
	v_cmp_le_i32_e32 vcc_lo, s29, v12
	s_or_b32 s45, vcc_lo, s45
	s_wait_loadcnt 0x0
	ds_store_b64 v11, v[14:15]
	v_add_nc_u32_e32 v11, 0x210, v11
	s_wait_xcnt 0x0
	s_and_not1_b32 exec_lo, exec_lo, s45
	s_cbranch_execz .LBB18_30
.LBB18_34:                              ;   Parent Loop BB18_15 Depth=1
                                        ;     Parent Loop BB18_31 Depth=2
                                        ; =>    This Inner Loop Header: Depth=3
	s_and_b32 vcc_lo, exec_lo, s39
	s_cbranch_vccz .LBB18_36
; %bb.35:                               ;   in Loop: Header=BB18_34 Depth=3
	v_add_nc_u32_e32 v13, s7, v12
	s_delay_alu instid0(VALU_DEP_1)
	v_mad_u32 v13, v13, s29, v10
	s_cbranch_execnz .LBB18_33
	s_branch .LBB18_37
.LBB18_36:                              ;   in Loop: Header=BB18_34 Depth=3
                                        ; implicit-def: $vgpr13
.LBB18_37:                              ;   in Loop: Header=BB18_34 Depth=3
	s_delay_alu instid0(VALU_DEP_2)
	v_add_nc_u32_e32 v13, v8, v12
	s_branch .LBB18_33
.LBB18_38:                              ;   in Loop: Header=BB18_15 Depth=1
	s_or_b32 exec_lo, exec_lo, s6
	s_delay_alu instid0(SALU_CYCLE_1)
	s_and_not1_b32 vcc_lo, exec_lo, s40
	s_wait_loadcnt_dscnt 0x0
	s_cbranch_vccnz .LBB18_54
; %bb.39:                               ;   in Loop: Header=BB18_15 Depth=1
	v_dual_mov_b32 v35, v5 :: v_dual_mov_b32 v36, v25
	v_dual_mov_b32 v37, v33 :: v_dual_mov_b32 v38, v32
	s_mov_b32 s45, 0
	s_mov_b32 s46, 0
	s_branch .LBB18_41
.LBB18_40:                              ;   in Loop: Header=BB18_41 Depth=2
	s_or_b32 exec_lo, exec_lo, s47
	v_add_nc_u32_e32 v38, 0x108, v38
	v_add_nc_u32_e32 v37, 0x110, v37
	v_dual_add_nc_u32 v36, 1, v36 :: v_dual_add_nc_u32 v35, -1, v35
	s_add_co_i32 s46, s46, 1
	s_add_co_i32 s45, s45, 8
	s_cmp_eq_u32 s46, s29
	s_wait_dscnt 0x0
	s_cbranch_scc1 .LBB18_54
.LBB18_41:                              ;   Parent Loop BB18_15 Depth=1
                                        ; =>  This Loop Header: Depth=2
                                        ;       Child Loop BB18_44 Depth 3
                                        ;         Child Loop BB18_49 Depth 4
                                        ;         Child Loop BB18_53 Depth 4
	s_and_saveexec_b32 s47, s0
	s_cbranch_execz .LBB18_40
; %bb.42:                               ;   in Loop: Header=BB18_41 Depth=2
	s_mul_i32 s48, s46, 0x108
	s_lshl_b32 s6, s46, 3
	v_subrev_nc_u32_e32 v15, s46, v5
	s_add_co_i32 s6, s48, s6
	v_dual_mov_b32 v41, v38 :: v_dual_max_i32 v16, s29, v36
	v_mov_b32_e32 v8, s6
	s_mov_b32 s49, 0
	s_mov_b32 s50, 0
	s_delay_alu instid0(VALU_DEP_2)
	v_dual_mov_b32 v40, v26 :: v_dual_add_nc_u32 v16, v16, v35
	ds_load_b64 v[8:9], v8
	v_add_nc_u32_e32 v42, s48, v28
	s_addk_co_i32 s48, 0x2100
	s_wait_dscnt 0x0
	v_dual_mov_b32 v46, v23 :: v_dual_mul_f32 v10, v9, v9
	s_delay_alu instid0(VALU_DEP_1) | instskip(NEXT) | instid1(VALU_DEP_1)
	v_fmac_f32_e32 v10, v8, v8
	v_div_scale_f32 v11, null, v10, v10, 1.0
	s_delay_alu instid0(VALU_DEP_1)
	v_rcp_f32_e32 v12, v11
	v_nop
	v_xor_b32_e32 v11, 0x80000000, v11
	s_delay_alu instid0(TRANS32_DEP_1) | instid1(VALU_DEP_1)
	v_fma_f32 v13, v11, v12, 1.0
	s_delay_alu instid0(VALU_DEP_1) | instskip(SKIP_1) | instid1(VALU_DEP_1)
	v_fmac_f32_e32 v12, v13, v12
	v_add_max_i32_e64 v13, v25, s46, s29
	v_add_nc_u32_e32 v13, v13, v15
	v_div_scale_f32 v14, vcc_lo, 1.0, v10, 1.0
	s_delay_alu instid0(VALU_DEP_1) | instskip(SKIP_2) | instid1(VALU_DEP_3)
	v_dual_mul_f32 v17, v14, v12 :: v_dual_lshrrev_b32 v18, 1, v13
	v_add_nc_u32_e32 v39, s46, v24
	v_cmp_gt_u32_e64 s7, 26, v13
	v_mul_hi_u32 v13, 0x210, v18
	s_delay_alu instid0(VALU_DEP_4) | instskip(SKIP_2) | instid1(VALU_DEP_3)
	v_fma_f32 v15, v11, v17, v14
	v_mul_lo_u32 v43, 0x210, v18
	v_cmp_gt_i32_e64 s6, s29, v39
	v_fmac_f32_e32 v17, v15, v12
	v_dual_lshrrev_b32 v15, 1, v16 :: v_dual_add_nc_u32 v16, 1, v18
	s_delay_alu instid0(VALU_DEP_1) | instskip(NEXT) | instid1(VALU_DEP_2)
	v_dual_fmac_f32 v14, v11, v17 :: v_dual_add_nc_u32 v11, 1, v15
	v_and_b32_e32 v15, -2, v16
	v_cmp_ne_u32_e64 s8, 0, v13
	v_mov_b32_e32 v13, v8
	s_delay_alu instid0(VALU_DEP_4) | instskip(SKIP_3) | instid1(VALU_DEP_4)
	v_div_fmas_f32 v12, v14, v12, v17
	v_and_b32_e32 v44, -2, v11
	v_lshl_add_u32 v45, v15, 1, v39
	v_cmp_ne_u32_e32 vcc_lo, v16, v15
	v_div_fixup_f32 v10, v12, v10, 1.0
	v_dual_mov_b32 v12, v8 :: v_dual_mov_b32 v8, v9
	s_delay_alu instid0(VALU_DEP_2)
	v_mov_b32_e32 v11, v10
	s_branch .LBB18_44
.LBB18_43:                              ;   in Loop: Header=BB18_44 Depth=3
	s_or_b32 exec_lo, exec_lo, s51
	v_add_nc_u32_e32 v46, 32, v46
	v_add_nc_u32_e32 v41, 0x100, v41
	;; [unrolled: 1-line block ×3, first 2 shown]
	s_add_co_i32 s50, s50, 1
	s_delay_alu instid0(VALU_DEP_3) | instskip(SKIP_1) | instid1(SALU_CYCLE_1)
	v_cmp_le_i32_e64 s9, s29, v46
	s_or_b32 s49, s9, s49
	s_and_not1_b32 exec_lo, exec_lo, s49
	s_cbranch_execz .LBB18_40
.LBB18_44:                              ;   Parent Loop BB18_15 Depth=1
                                        ;     Parent Loop BB18_41 Depth=2
                                        ; =>    This Loop Header: Depth=3
                                        ;         Child Loop BB18_49 Depth 4
                                        ;         Child Loop BB18_53 Depth 4
	v_lshl_add_u32 v16, v46, 3, s48
	ds_load_b64 v[14:15], v16
	s_wait_dscnt 0x0
	v_pk_mul_f32 v[18:19], v[8:9], v[14:15] op_sel:[0,1] op_sel_hi:[1,0] neg_hi:[0,1]
	s_delay_alu instid0(VALU_DEP_1) | instskip(NEXT) | instid1(VALU_DEP_1)
	v_pk_fma_f32 v[14:15], v[14:15], v[12:13], v[18:19]
	v_pk_mul_f32 v[14:15], v[10:11], v[14:15]
	s_and_saveexec_b32 s9, s3
; %bb.45:                               ;   in Loop: Header=BB18_44 Depth=3
	ds_store_b64 v16, v[14:15]
; %bb.46:                               ;   in Loop: Header=BB18_44 Depth=3
	s_or_b32 exec_lo, exec_lo, s9
	s_and_saveexec_b32 s51, s6
	s_cbranch_execz .LBB18_43
; %bb.47:                               ;   in Loop: Header=BB18_44 Depth=3
	s_lshl_b32 s9, s50, 8
	s_delay_alu instid0(SALU_CYCLE_1) | instskip(NEXT) | instid1(VALU_DEP_1)
	v_add3_u32 v16, v42, s9, 0x108
	v_add_nc_u32_e32 v17, v16, v43
	s_delay_alu instid0(VALU_DEP_1) | instskip(SKIP_3) | instid1(SALU_CYCLE_1)
	v_cmp_lt_u32_e64 s9, v17, v16
	v_xor_b32_e32 v16, 0x80000000, v14
	v_mov_b32_e32 v17, v39
	s_or_b32 s9, s9, s8
	s_nor_b32 s53, s7, s9
	s_mov_b32 s9, -1
	s_and_saveexec_b32 s52, s53
	s_cbranch_execz .LBB18_51
; %bb.48:                               ;   in Loop: Header=BB18_44 Depth=3
	v_xor_b32_e32 v18, 0x80000000, v15
	v_dual_mov_b32 v17, v16 :: v_dual_mov_b32 v20, v15
	v_dual_mov_b32 v21, v15 :: v_dual_mov_b32 v47, v44
	s_delay_alu instid0(VALU_DEP_3)
	v_dual_mov_b32 v19, v18 :: v_dual_mov_b32 v48, v37
	v_mov_b32_e32 v49, v41
	s_mov_b32 s53, 0
.LBB18_49:                              ;   Parent Loop BB18_15 Depth=1
                                        ;     Parent Loop BB18_41 Depth=2
                                        ;       Parent Loop BB18_44 Depth=3
                                        ; =>      This Inner Loop Header: Depth=4
	ds_load_2addr_b64 v[50:53], v48 offset1:66
	ds_load_2addr_b64 v[54:57], v49 offset1:66
	v_add_nc_u32_e32 v48, 0x420, v48
	s_wait_dscnt 0x1
	v_dual_mov_b32 v58, v50 :: v_dual_mov_b32 v59, v52
	s_wait_dscnt 0x0
	v_dual_mov_b32 v60, v54 :: v_dual_mov_b32 v61, v56
	v_dual_mov_b32 v56, v55 :: v_dual_mov_b32 v52, v51
	s_delay_alu instid0(VALU_DEP_2) | instskip(NEXT) | instid1(VALU_DEP_2)
	v_pk_fma_f32 v[50:51], v[16:17], v[58:59], v[60:61]
	v_pk_fma_f32 v[54:55], v[18:19], v[58:59], v[56:57]
	s_delay_alu instid0(VALU_DEP_2) | instskip(NEXT) | instid1(VALU_DEP_2)
	v_pk_fma_f32 v[50:51], v[20:21], v[52:53], v[50:51]
	v_pk_fma_f32 v[52:53], v[16:17], v[52:53], v[54:55]
	s_delay_alu instid0(VALU_DEP_2) | instskip(NEXT) | instid1(VALU_DEP_2)
	v_dual_mov_b32 v54, v50 :: v_dual_add_nc_u32 v47, -2, v47
	v_dual_mov_b32 v55, v52 :: v_dual_mov_b32 v52, v51
	s_delay_alu instid0(VALU_DEP_2) | instskip(SKIP_3) | instid1(SALU_CYCLE_1)
	v_cmp_eq_u32_e64 s9, 0, v47
	ds_store_2addr_b64 v49, v[54:55], v[52:53] offset1:66
	v_add_nc_u32_e32 v49, 0x420, v49
	s_or_b32 s53, s9, s53
	s_and_not1_b32 exec_lo, exec_lo, s53
	s_cbranch_execnz .LBB18_49
; %bb.50:                               ;   in Loop: Header=BB18_44 Depth=3
	s_or_b32 exec_lo, exec_lo, s53
	v_mov_b32_e32 v17, v45
	s_or_not1_b32 s9, vcc_lo, exec_lo
.LBB18_51:                              ;   in Loop: Header=BB18_44 Depth=3
	s_or_b32 exec_lo, exec_lo, s52
	s_delay_alu instid0(SALU_CYCLE_1)
	s_and_b32 exec_lo, exec_lo, s9
	s_cbranch_execz .LBB18_43
; %bb.52:                               ;   in Loop: Header=BB18_44 Depth=3
	v_mul_lo_u32 v20, 0x108, v17
	v_dual_mov_b32 v18, v15 :: v_dual_mov_b32 v19, v16
	s_mov_b32 s52, 0
.LBB18_53:                              ;   Parent Loop BB18_15 Depth=1
                                        ;     Parent Loop BB18_41 Depth=2
                                        ;       Parent Loop BB18_44 Depth=3
                                        ; =>      This Inner Loop Header: Depth=4
	s_delay_alu instid0(VALU_DEP_2)
	v_dual_add_nc_u32 v16, s45, v20 :: v_dual_add_nc_u32 v21, v40, v20
	v_add_nc_u32_e32 v17, 2, v17
	v_add_nc_u32_e32 v20, 0x210, v20
	ds_load_b64 v[48:49], v16
	ds_load_b64 v[50:51], v21
	v_cmp_le_i32_e64 s9, s29, v17
	s_or_b32 s52, s9, s52
	s_wait_dscnt 0x0
	v_pk_fma_f32 v[50:51], v[14:15], v[48:49], v[50:51] op_sel_hi:[1,0,1] neg_lo:[1,0,0] neg_hi:[1,0,0]
	s_delay_alu instid0(VALU_DEP_1)
	v_pk_fma_f32 v[48:49], v[18:19], v[48:49], v[50:51] op_sel:[0,1,0]
	ds_store_b64 v21, v[48:49]
	s_and_not1_b32 exec_lo, exec_lo, s52
	s_cbranch_execnz .LBB18_53
	s_branch .LBB18_43
.LBB18_54:                              ;   in Loop: Header=BB18_15 Depth=1
	s_and_saveexec_b32 s6, s0
	s_cbranch_execz .LBB18_64
; %bb.55:                               ;   in Loop: Header=BB18_15 Depth=1
	v_dual_mov_b32 v8, v31 :: v_dual_mov_b32 v9, v29
	v_mov_b32_e32 v10, v23
	s_mul_i32 s7, s38, s29
	s_mov_b32 s8, 0
	s_branch .LBB18_57
.LBB18_56:                              ;   in Loop: Header=BB18_57 Depth=2
	s_or_b32 exec_lo, exec_lo, s9
	v_dual_add_nc_u32 v10, 32, v10 :: v_dual_add_nc_u32 v9, s42, v9
	v_add_nc_u32_e32 v8, 0x100, v8
	s_delay_alu instid0(VALU_DEP_2) | instskip(SKIP_1) | instid1(SALU_CYCLE_1)
	v_cmp_le_i32_e32 vcc_lo, s29, v10
	s_or_b32 s8, vcc_lo, s8
	s_and_not1_b32 exec_lo, exec_lo, s8
	s_cbranch_execz .LBB18_64
.LBB18_57:                              ;   Parent Loop BB18_15 Depth=1
                                        ; =>  This Loop Header: Depth=2
                                        ;       Child Loop BB18_60 Depth 3
	s_and_saveexec_b32 s9, s2
	s_cbranch_execz .LBB18_56
; %bb.58:                               ;   in Loop: Header=BB18_57 Depth=2
	v_dual_mov_b32 v11, v8 :: v_dual_mov_b32 v12, v22
	s_mov_b32 s45, 0
	s_branch .LBB18_60
.LBB18_59:                              ;   in Loop: Header=BB18_60 Depth=3
	ds_load_b64 v[14:15], v11
	v_add_nc_u32_e32 v12, 2, v12
	v_add_nc_u32_e32 v11, 0x210, v11
	s_delay_alu instid0(VALU_DEP_2)
	v_cmp_le_i32_e32 vcc_lo, s29, v12
	s_or_b32 s45, vcc_lo, s45
	s_wait_dscnt 0x0
	global_store_b64 v13, v[14:15], s[16:17] scale_offset
	s_wait_xcnt 0x0
	s_and_not1_b32 exec_lo, exec_lo, s45
	s_cbranch_execz .LBB18_56
.LBB18_60:                              ;   Parent Loop BB18_15 Depth=1
                                        ;     Parent Loop BB18_57 Depth=2
                                        ; =>    This Inner Loop Header: Depth=3
	s_and_b32 vcc_lo, exec_lo, s39
	s_cbranch_vccz .LBB18_62
; %bb.61:                               ;   in Loop: Header=BB18_60 Depth=3
	v_add_nc_u32_e32 v13, s7, v12
	s_delay_alu instid0(VALU_DEP_1)
	v_mad_u32 v13, v13, s29, v10
	s_cbranch_execnz .LBB18_59
	s_branch .LBB18_63
.LBB18_62:                              ;   in Loop: Header=BB18_60 Depth=3
                                        ; implicit-def: $vgpr13
.LBB18_63:                              ;   in Loop: Header=BB18_60 Depth=3
	v_add_nc_u32_e32 v13, v9, v12
	s_branch .LBB18_59
.LBB18_64:                              ;   in Loop: Header=BB18_15 Depth=1
	s_or_b32 exec_lo, exec_lo, s6
	s_sub_co_i32 s6, s44, s10
	s_add_co_i32 s7, s43, 1
	s_delay_alu instid0(SALU_CYCLE_1)
	s_cmp_ge_i32 s7, s6
	s_cbranch_scc1 .LBB18_14
; %bb.65:                               ;   in Loop: Header=BB18_15 Depth=1
	v_mad_u32 v8, s29, s7, v23
	s_delay_alu instid0(VALU_DEP_1)
	v_mul_lo_u32 v10, s29, v8
	s_branch .LBB18_69
.LBB18_66:                              ;   in Loop: Header=BB18_69 Depth=2
	s_or_b32 exec_lo, exec_lo, s9
.LBB18_67:                              ;   in Loop: Header=BB18_69 Depth=2
	s_delay_alu instid0(SALU_CYCLE_1)
	s_or_b32 exec_lo, exec_lo, s8
.LBB18_68:                              ;   in Loop: Header=BB18_69 Depth=2
	v_add_nc_u32_e32 v10, s41, v10
	s_add_co_i32 s7, s7, 1
	s_wait_storecnt_dscnt 0x0
	s_cmp_lt_i32 s7, s6
	s_cbranch_scc0 .LBB18_14
.LBB18_69:                              ;   Parent Loop BB18_15 Depth=1
                                        ; =>  This Loop Header: Depth=2
                                        ;       Child Loop BB18_74 Depth 3
                                        ;       Child Loop BB18_83 Depth 3
                                        ;         Child Loop BB18_86 Depth 4
                                        ;       Child Loop BB18_92 Depth 3
                                        ;         Child Loop BB18_95 Depth 4
                                        ;           Child Loop BB18_96 Depth 5
	v_dual_mov_b32 v8, s7 :: v_dual_mov_b32 v9, s31
	global_load_b32 v8, v8, s[14:15] scale_offset
	s_wait_xcnt 0x0
	s_and_saveexec_b32 s8, s4
	s_cbranch_execz .LBB18_71
; %bb.70:                               ;   in Loop: Header=BB18_69 Depth=2
	global_load_b32 v9, v[6:7], off
	s_wait_loadcnt 0x0
	v_subrev_nc_u32_e32 v9, s10, v9
.LBB18_71:                              ;   in Loop: Header=BB18_69 Depth=2
	s_wait_xcnt 0x0
	s_or_b32 exec_lo, exec_lo, s8
	s_wait_loadcnt 0x0
	v_subrev_nc_u32_e32 v8, s10, v8
	v_mov_b32_e32 v11, v4
	s_mov_b32 s8, exec_lo
	s_delay_alu instid0(VALU_DEP_2)
	v_cmpx_lt_i32_e64 v9, v8
	s_cbranch_execz .LBB18_77
; %bb.72:                               ;   in Loop: Header=BB18_69 Depth=2
	v_mov_b32_e32 v12, v4
	s_mov_b32 s9, 0
	s_branch .LBB18_74
.LBB18_73:                              ;   in Loop: Header=BB18_74 Depth=3
	s_wait_xcnt 0x0
	s_or_b32 exec_lo, exec_lo, s43
	s_delay_alu instid0(VALU_DEP_1) | instskip(SKIP_2) | instid1(SALU_CYCLE_1)
	v_cmp_ge_i32_e32 vcc_lo, v9, v8
	v_mov_b32_e32 v12, v11
	s_or_b32 s9, vcc_lo, s9
	s_and_not1_b32 exec_lo, exec_lo, s9
	s_cbranch_execz .LBB18_76
.LBB18_74:                              ;   Parent Loop BB18_15 Depth=1
                                        ;     Parent Loop BB18_69 Depth=2
                                        ; =>    This Inner Loop Header: Depth=3
	s_delay_alu instid0(VALU_DEP_1) | instskip(SKIP_1) | instid1(VALU_DEP_1)
	v_dual_add_nc_u32 v11, 64, v12 :: v_dual_mov_b32 v9, s31
	s_mov_b32 s43, exec_lo
	v_cmpx_gt_i32_e64 s33, v11
	s_cbranch_execz .LBB18_73
; %bb.75:                               ;   in Loop: Header=BB18_74 Depth=3
	global_load_b32 v9, v12, s[14:15] offset:256 scale_offset
	s_wait_loadcnt 0x0
	v_subrev_nc_u32_e32 v9, s10, v9
	s_branch .LBB18_73
.LBB18_76:                              ;   in Loop: Header=BB18_69 Depth=2
	s_or_b32 exec_lo, exec_lo, s9
.LBB18_77:                              ;   in Loop: Header=BB18_69 Depth=2
	s_delay_alu instid0(SALU_CYCLE_1)
	s_or_b32 exec_lo, exec_lo, s8
	v_cmp_eq_u32_e32 vcc_lo, v9, v8
	s_cbranch_vccz .LBB18_68
; %bb.78:                               ;   in Loop: Header=BB18_69 Depth=2
	s_ctz_i32_b32 s8, vcc_lo
	s_delay_alu instid0(SALU_CYCLE_1) | instskip(NEXT) | instid1(SALU_CYCLE_1)
	s_lshl_b32 s8, s8, 2
	v_mov_b32_e32 v8, s8
	ds_bpermute_b32 v8, v8, v11
	s_and_saveexec_b32 s8, s1
	s_delay_alu instid0(SALU_CYCLE_1)
	s_xor_b32 s8, exec_lo, s8
	s_cbranch_execz .LBB18_80
; %bb.79:                               ;   in Loop: Header=BB18_69 Depth=2
                                        ; implicit-def: $vgpr8
	s_wait_storecnt_dscnt 0x0
.LBB18_80:                              ;   in Loop: Header=BB18_69 Depth=2
	s_and_not1_saveexec_b32 s8, s8
	s_cbranch_execz .LBB18_67
; %bb.81:                               ;   in Loop: Header=BB18_69 Depth=2
	v_dual_mov_b32 v9, v27 :: v_dual_mov_b32 v11, v10
	v_mov_b32_e32 v12, v23
	s_mul_i32 s43, s7, s29
	s_mov_b32 s9, 0
	s_branch .LBB18_83
.LBB18_82:                              ;   in Loop: Header=BB18_83 Depth=3
	s_or_b32 exec_lo, exec_lo, s44
	v_dual_add_nc_u32 v12, 32, v12 :: v_dual_add_nc_u32 v11, s42, v11
	v_add_nc_u32_e32 v9, 0x100, v9
	s_delay_alu instid0(VALU_DEP_2) | instskip(SKIP_1) | instid1(SALU_CYCLE_1)
	v_cmp_le_i32_e32 vcc_lo, s29, v12
	s_or_b32 s9, vcc_lo, s9
	s_and_not1_b32 exec_lo, exec_lo, s9
	s_cbranch_execz .LBB18_90
.LBB18_83:                              ;   Parent Loop BB18_15 Depth=1
                                        ;     Parent Loop BB18_69 Depth=2
                                        ; =>    This Loop Header: Depth=3
                                        ;         Child Loop BB18_86 Depth 4
	s_and_saveexec_b32 s44, s2
	s_cbranch_execz .LBB18_82
; %bb.84:                               ;   in Loop: Header=BB18_83 Depth=3
	v_dual_mov_b32 v13, v9 :: v_dual_mov_b32 v14, v22
	s_mov_b32 s45, 0
	s_branch .LBB18_86
.LBB18_85:                              ;   in Loop: Header=BB18_86 Depth=4
	global_load_b64 v[16:17], v15, s[16:17] scale_offset
	v_add_nc_u32_e32 v14, 2, v14
	s_delay_alu instid0(VALU_DEP_1)
	v_cmp_le_i32_e32 vcc_lo, s29, v14
	s_or_b32 s45, vcc_lo, s45
	s_wait_loadcnt 0x0
	ds_store_b64 v13, v[16:17]
	v_add_nc_u32_e32 v13, 0x210, v13
	s_wait_xcnt 0x0
	s_and_not1_b32 exec_lo, exec_lo, s45
	s_cbranch_execz .LBB18_82
.LBB18_86:                              ;   Parent Loop BB18_15 Depth=1
                                        ;     Parent Loop BB18_69 Depth=2
                                        ;       Parent Loop BB18_83 Depth=3
                                        ; =>      This Inner Loop Header: Depth=4
	s_and_b32 vcc_lo, exec_lo, s39
	s_cbranch_vccz .LBB18_88
; %bb.87:                               ;   in Loop: Header=BB18_86 Depth=4
	v_add_nc_u32_e32 v15, s43, v14
	s_delay_alu instid0(VALU_DEP_1)
	v_mad_u32 v15, v15, s29, v12
	s_cbranch_execnz .LBB18_85
	s_branch .LBB18_89
.LBB18_88:                              ;   in Loop: Header=BB18_86 Depth=4
                                        ; implicit-def: $vgpr15
.LBB18_89:                              ;   in Loop: Header=BB18_86 Depth=4
	v_add_nc_u32_e32 v15, v11, v14
	s_branch .LBB18_85
.LBB18_90:                              ;   in Loop: Header=BB18_69 Depth=2
	s_or_b32 exec_lo, exec_lo, s9
	s_wait_dscnt 0x0
	v_mul_lo_u32 v11, v8, s29
	v_dual_mov_b32 v12, v26 :: v_dual_mov_b32 v13, v23
	s_mov_b32 s9, 0
	s_wait_storecnt 0x0
	s_branch .LBB18_92
.LBB18_91:                              ;   in Loop: Header=BB18_92 Depth=3
	s_or_b32 exec_lo, exec_lo, s43
	v_add_nc_u32_e32 v13, 32, v13
	v_add_nc_u32_e32 v12, 0x100, v12
	s_delay_alu instid0(VALU_DEP_2) | instskip(SKIP_1) | instid1(SALU_CYCLE_1)
	v_cmp_le_i32_e32 vcc_lo, s29, v13
	s_or_b32 s9, vcc_lo, s9
	s_and_not1_b32 exec_lo, exec_lo, s9
	s_cbranch_execz .LBB18_66
.LBB18_92:                              ;   Parent Loop BB18_15 Depth=1
                                        ;     Parent Loop BB18_69 Depth=2
                                        ; =>    This Loop Header: Depth=3
                                        ;         Child Loop BB18_95 Depth 4
                                        ;           Child Loop BB18_96 Depth 5
	s_and_saveexec_b32 s43, s2
	s_cbranch_execz .LBB18_91
; %bb.93:                               ;   in Loop: Header=BB18_92 Depth=3
	s_delay_alu instid0(VALU_DEP_2) | instskip(SKIP_2) | instid1(VALU_DEP_2)
	v_dual_mov_b32 v15, v30 :: v_dual_add_nc_u32 v8, v13, v11
	v_mov_b32_e32 v16, v22
	s_mov_b32 s44, 0
	v_mul_lo_u32 v14, v8, s29
	s_branch .LBB18_95
.LBB18_94:                              ;   in Loop: Header=BB18_95 Depth=4
	global_load_b64 v[18:19], v17, s[16:17] scale_offset
	v_add_nc_u32_e32 v16, 2, v16
	v_add_nc_u32_e32 v15, 0x210, v15
	s_delay_alu instid0(VALU_DEP_2)
	v_cmp_le_i32_e32 vcc_lo, s29, v16
	s_or_b32 s44, vcc_lo, s44
	s_wait_loadcnt 0x0
	v_pk_add_f32 v[8:9], v[18:19], v[8:9] neg_lo:[0,1] neg_hi:[0,1]
	global_store_b64 v17, v[8:9], s[16:17] scale_offset
	s_wait_xcnt 0x0
	s_and_not1_b32 exec_lo, exec_lo, s44
	s_cbranch_execz .LBB18_91
.LBB18_95:                              ;   Parent Loop BB18_15 Depth=1
                                        ;     Parent Loop BB18_69 Depth=2
                                        ;       Parent Loop BB18_92 Depth=3
                                        ; =>      This Loop Header: Depth=4
                                        ;           Child Loop BB18_96 Depth 5
	v_dual_mov_b32 v8, 0 :: v_dual_mov_b32 v17, v12
	v_mov_b32_e32 v18, v15
	s_mov_b32 s45, s29
	s_delay_alu instid0(VALU_DEP_2)
	v_mov_b32_e32 v9, v8
.LBB18_96:                              ;   Parent Loop BB18_15 Depth=1
                                        ;     Parent Loop BB18_69 Depth=2
                                        ;       Parent Loop BB18_92 Depth=3
                                        ;         Parent Loop BB18_95 Depth=4
                                        ; =>        This Inner Loop Header: Depth=5
	ds_load_b64 v[20:21], v18
	ds_load_b64 v[36:37], v17
	v_add_nc_u32_e32 v18, 8, v18
	v_add_nc_u32_e32 v17, 0x108, v17
	s_add_co_i32 s45, s45, -1
	s_delay_alu instid0(SALU_CYCLE_1) | instskip(SKIP_2) | instid1(VALU_DEP_1)
	s_cmp_eq_u32 s45, 0
	s_wait_dscnt 0x0
	v_pk_fma_f32 v[8:9], v[36:37], v[20:21], v[8:9] op_sel_hi:[1,0,1]
	v_pk_fma_f32 v[8:9], v[36:37], v[20:21], v[8:9] op_sel:[1,1,0] op_sel_hi:[0,1,1] neg_lo:[1,0,0]
	s_cbranch_scc0 .LBB18_96
; %bb.97:                               ;   in Loop: Header=BB18_95 Depth=4
	s_and_b32 vcc_lo, exec_lo, s39
	s_cbranch_vccz .LBB18_99
; %bb.98:                               ;   in Loop: Header=BB18_95 Depth=4
	v_add_nc_u32_e32 v17, v16, v11
	s_delay_alu instid0(VALU_DEP_1)
	v_mad_u32 v17, v17, s29, v13
	s_cbranch_execnz .LBB18_94
	s_branch .LBB18_100
.LBB18_99:                              ;   in Loop: Header=BB18_95 Depth=4
                                        ; implicit-def: $vgpr17
.LBB18_100:                             ;   in Loop: Header=BB18_95 Depth=4
	v_add_nc_u32_e32 v17, v16, v14
	s_branch .LBB18_94
.LBB18_101:
	v_mov_b32_e32 v4, s34
	global_load_b32 v4, v4, s[14:15] scale_offset
	s_wait_loadcnt 0x0
	s_wait_xcnt 0x0
	v_subrev_nc_u32_e32 v4, s10, v4
	s_delay_alu instid0(VALU_DEP_1)
	v_cmp_ne_u32_e32 vcc_lo, s28, v4
	s_cbranch_vccnz .LBB18_151
; %bb.102:
	v_and_b32_e32 v14, 0x3ff, v0
	s_delay_alu instid0(VALU_DEP_1)
	v_cmp_gt_i32_e64 s0, s29, v14
	v_lshlrev_b32_e32 v15, 3, v14
	s_and_saveexec_b32 s2, s0
	s_cbranch_execz .LBB18_113
; %bb.103:
	s_mul_i32 s3, s34, s29
	v_bfe_u32 v4, v0, 10, 10
	v_dual_add_nc_u32 v5, s3, v14 :: v_dual_mov_b32 v7, v14
	s_cmp_lg_u32 s30, 0
	s_mov_b32 s4, 0
	s_delay_alu instid0(VALU_DEP_2) | instskip(NEXT) | instid1(VALU_DEP_2)
	v_cmp_gt_u32_e64 s1, s29, v4
	v_mul_lo_u32 v5, s29, v5
	v_mad_u32_u24 v6, 0x108, v4, v15
	s_cselect_b32 s5, -1, 0
	s_lshl_b32 s6, s29, 5
	s_branch .LBB18_105
.LBB18_104:                             ;   in Loop: Header=BB18_105 Depth=1
	s_or_b32 exec_lo, exec_lo, s7
	s_delay_alu instid0(VALU_DEP_2) | instskip(SKIP_1) | instid1(VALU_DEP_2)
	v_dual_add_nc_u32 v7, 32, v7 :: v_dual_add_nc_u32 v5, s6, v5
	v_add_nc_u32_e32 v6, 0x100, v6
	v_cmp_le_i32_e32 vcc_lo, s29, v7
	s_or_b32 s4, vcc_lo, s4
	s_delay_alu instid0(SALU_CYCLE_1)
	s_and_not1_b32 exec_lo, exec_lo, s4
	s_cbranch_execz .LBB18_113
.LBB18_105:                             ; =>This Loop Header: Depth=1
                                        ;     Child Loop BB18_108 Depth 2
	s_and_saveexec_b32 s7, s1
	s_cbranch_execz .LBB18_104
; %bb.106:                              ;   in Loop: Header=BB18_105 Depth=1
	v_dual_mov_b32 v8, v6 :: v_dual_mov_b32 v9, v4
	s_mov_b32 s8, 0
	s_branch .LBB18_108
.LBB18_107:                             ;   in Loop: Header=BB18_108 Depth=2
	global_load_b64 v[10:11], v10, s[16:17] scale_offset
	v_add_nc_u32_e32 v9, 2, v9
	s_delay_alu instid0(VALU_DEP_1)
	v_cmp_le_i32_e32 vcc_lo, s29, v9
	s_or_b32 s8, vcc_lo, s8
	s_wait_loadcnt 0x0
	ds_store_b64 v8, v[10:11]
	v_add_nc_u32_e32 v8, 0x210, v8
	s_wait_xcnt 0x0
	s_and_not1_b32 exec_lo, exec_lo, s8
	s_cbranch_execz .LBB18_104
.LBB18_108:                             ;   Parent Loop BB18_105 Depth=1
                                        ; =>  This Inner Loop Header: Depth=2
	s_and_b32 vcc_lo, exec_lo, s5
	s_cbranch_vccz .LBB18_110
; %bb.109:                              ;   in Loop: Header=BB18_108 Depth=2
	v_add_nc_u32_e32 v10, s3, v9
	s_delay_alu instid0(VALU_DEP_1)
	v_mad_u32 v10, v10, s29, v7
	s_cbranch_execnz .LBB18_107
	s_branch .LBB18_111
.LBB18_110:                             ;   in Loop: Header=BB18_108 Depth=2
                                        ; implicit-def: $vgpr10
.LBB18_111:                             ;   in Loop: Header=BB18_108 Depth=2
	v_add_nc_u32_e32 v10, v5, v9
	s_branch .LBB18_107
.LBB18_112:
	s_mov_b32 s11, -1
	s_branch .LBB18_203
.LBB18_113:
	s_or_b32 exec_lo, exec_lo, s2
	s_cmp_lt_i32 s29, 1
	s_wait_storecnt_dscnt 0x0
	s_cbranch_scc1 .LBB18_140
; %bb.114:
	v_cvt_f64_f32_e32 v[4:5], s37
	v_bfe_u32 v16, v0, 10, 10
	s_cmp_eq_u64 s[20:21], 8
	s_mov_b32 s6, 0
	s_cselect_b32 vcc_lo, -1, 0
	s_delay_alu instid0(VALU_DEP_1) | instskip(SKIP_3) | instid1(VALU_DEP_3)
	v_or_b32_e32 v6, v14, v16
	v_mul_u32_u24_e32 v7, 0x108, v16
	v_cmp_eq_u32_e64 s1, 0, v16
	v_mad_u32_u24 v18, 0x108, v16, 0x108
	v_add3_u32 v17, v7, v15, 0x110
	v_cndmask_b32_e32 v3, v5, v3, vcc_lo
	v_cmp_eq_u32_e64 s2, 0, v6
	v_cndmask_b32_e32 v2, v4, v2, vcc_lo
.LBB18_115:                             ; =>This Loop Header: Depth=1
                                        ;     Child Loop BB18_132 Depth 2
                                        ;       Child Loop BB18_136 Depth 3
	s_mul_i32 s7, s6, 0x108
	s_lshl_b32 s3, s6, 3
	v_cmp_ne_u32_e32 vcc_lo, 1, v1
	s_add_co_i32 s3, s7, s3
	s_mov_b32 s8, 0
	v_mov_b32_e32 v4, s3
	s_mov_b32 s9, -1
	s_and_b32 vcc_lo, exec_lo, vcc_lo
	ds_load_b64 v[6:7], v4
                                        ; implicit-def: $vgpr4_vgpr5
	s_wait_dscnt 0x0
	v_readfirstlane_b32 s4, v7
	v_readfirstlane_b32 s5, v6
	s_cbranch_vccz .LBB18_120
; %bb.116:                              ;   in Loop: Header=BB18_115 Depth=1
	s_and_b32 vcc_lo, exec_lo, s9
	s_mov_b32 s3, 0
	s_cbranch_vccnz .LBB18_128
.LBB18_117:                             ;   in Loop: Header=BB18_115 Depth=1
	s_and_not1_b32 vcc_lo, exec_lo, s8
                                        ; implicit-def: $sgpr4
	s_cbranch_vccz .LBB18_129
.LBB18_118:                             ;   in Loop: Header=BB18_115 Depth=1
	s_and_not1_b32 vcc_lo, exec_lo, s3
	s_cbranch_vccz .LBB18_138
.LBB18_119:                             ;   in Loop: Header=BB18_115 Depth=1
	v_add_nc_u32_e32 v17, 0x110, v17
	v_add_nc_u32_e32 v18, 0x110, v18
	s_cmp_eq_u32 s4, s29
	s_cbranch_scc0 .LBB18_139
	s_branch .LBB18_140
.LBB18_120:                             ;   in Loop: Header=BB18_115 Depth=1
	s_xor_b32 s8, s5, 0x80000000
	s_cmp_lt_f32 s5, 0
	s_mov_b32 s12, -1
                                        ; implicit-def: $sgpr13
	s_cselect_b32 s8, s8, s5
	s_xor_b32 s9, s4, 0x80000000
	s_cmp_lt_f32 s4, 0
	s_cselect_b32 s9, s9, s4
	s_delay_alu instid0(SALU_CYCLE_1)
	s_cmp_ngt_f32 s8, s9
	s_cbranch_scc0 .LBB18_123
; %bb.121:                              ;   in Loop: Header=BB18_115 Depth=1
	s_cmp_eq_f32 s4, 0
	s_mov_b32 s12, 0
	s_mov_b32 s13, 0
	s_cbranch_scc1 .LBB18_123
; %bb.122:                              ;   in Loop: Header=BB18_115 Depth=1
	v_div_scale_f32 v4, null, s9, s9, s8
	v_div_scale_f32 v9, vcc_lo, s8, s9, s8
	s_delay_alu instid0(VALU_DEP_2)
	v_rcp_f32_e32 v5, v4
	v_nop
	v_xor_b32_e32 v4, 0x80000000, v4
	s_delay_alu instid0(TRANS32_DEP_1) | instid1(VALU_DEP_1)
	v_fma_f32 v8, v4, v5, 1.0
	s_delay_alu instid0(VALU_DEP_1) | instskip(NEXT) | instid1(VALU_DEP_1)
	v_fmac_f32_e32 v5, v8, v5
	v_mul_f32_e32 v8, v9, v5
	s_delay_alu instid0(VALU_DEP_1) | instskip(NEXT) | instid1(VALU_DEP_1)
	v_fma_f32 v10, v4, v8, v9
	v_fmac_f32_e32 v8, v10, v5
	s_delay_alu instid0(VALU_DEP_1) | instskip(NEXT) | instid1(VALU_DEP_1)
	v_fmac_f32_e32 v9, v4, v8
	v_div_fmas_f32 v4, v9, v5, v8
	s_delay_alu instid0(VALU_DEP_1) | instskip(NEXT) | instid1(VALU_DEP_1)
	v_div_fixup_f32 v4, v4, s9, s8
	v_readfirstlane_b32 s13, v4
	s_fmaak_f32 s13, s13, s13, 0x3f800000
	s_delay_alu instid0(SALU_CYCLE_3) | instskip(SKIP_1) | instid1(SALU_CYCLE_2)
	s_mul_f32 s14, s13, 0x4f800000
	s_cmp_lt_f32 s13, 0xf800000
	s_cselect_b32 s14, s14, s13
	s_delay_alu instid0(SALU_CYCLE_1) | instskip(SKIP_1) | instid1(TRANS32_DEP_1)
	v_s_sqrt_f32 s15, s14
	s_mov_b32 s19, s14
	s_add_co_i32 s18, s15, -1
	s_delay_alu instid0(SALU_CYCLE_1) | instskip(NEXT) | instid1(SALU_CYCLE_1)
	s_xor_b32 s20, s18, 0x80000000
	s_fmac_f32 s19, s20, s15
	s_mov_b32 s20, s14
	s_delay_alu instid0(SALU_CYCLE_2) | instskip(SKIP_2) | instid1(SALU_CYCLE_1)
	s_cmp_le_f32 s19, 0
	s_cselect_b32 s18, s18, s15
	s_add_co_i32 s19, s15, 1
	s_xor_b32 s21, s19, 0x80000000
	s_delay_alu instid0(SALU_CYCLE_1) | instskip(NEXT) | instid1(SALU_CYCLE_3)
	s_fmac_f32 s20, s21, s15
	s_cmp_gt_f32 s20, 0
	s_cselect_b32 s15, s19, s18
	s_cmp_lt_f32 s13, 0xf800000
	s_mul_f32 s13, s15, 0x37800000
	v_cmp_class_f32_e64 s18, s14, 0x260
	s_delay_alu instid0(SALU_CYCLE_2) | instskip(SKIP_2) | instid1(SALU_CYCLE_1)
	s_cselect_b32 s13, s13, s15
	s_and_b32 s15, s18, exec_lo
	s_cselect_b32 s13, s14, s13
	s_mul_f32 s13, s9, s13
.LBB18_123:                             ;   in Loop: Header=BB18_115 Depth=1
	s_and_not1_b32 vcc_lo, exec_lo, s12
	s_cbranch_vccnz .LBB18_125
; %bb.124:                              ;   in Loop: Header=BB18_115 Depth=1
	v_div_scale_f32 v4, null, s8, s8, s9
	v_div_scale_f32 v9, vcc_lo, s9, s8, s9
	s_delay_alu instid0(VALU_DEP_2)
	v_rcp_f32_e32 v5, v4
	v_nop
	v_xor_b32_e32 v4, 0x80000000, v4
	s_delay_alu instid0(TRANS32_DEP_1) | instid1(VALU_DEP_1)
	v_fma_f32 v8, v4, v5, 1.0
	s_delay_alu instid0(VALU_DEP_1) | instskip(NEXT) | instid1(VALU_DEP_1)
	v_fmac_f32_e32 v5, v8, v5
	v_mul_f32_e32 v8, v9, v5
	s_delay_alu instid0(VALU_DEP_1) | instskip(NEXT) | instid1(VALU_DEP_1)
	v_fma_f32 v10, v4, v8, v9
	v_fmac_f32_e32 v8, v10, v5
	s_delay_alu instid0(VALU_DEP_1) | instskip(NEXT) | instid1(VALU_DEP_1)
	v_fmac_f32_e32 v9, v4, v8
	v_div_fmas_f32 v4, v9, v5, v8
	s_delay_alu instid0(VALU_DEP_1) | instskip(NEXT) | instid1(VALU_DEP_1)
	v_div_fixup_f32 v4, v4, s8, s9
	v_readfirstlane_b32 s9, v4
	s_fmaak_f32 s9, s9, s9, 0x3f800000
	s_delay_alu instid0(SALU_CYCLE_3) | instskip(SKIP_1) | instid1(SALU_CYCLE_2)
	s_mul_f32 s12, s9, 0x4f800000
	s_cmp_lt_f32 s9, 0xf800000
	s_cselect_b32 s12, s12, s9
	s_delay_alu instid0(SALU_CYCLE_1) | instskip(SKIP_1) | instid1(TRANS32_DEP_1)
	v_s_sqrt_f32 s13, s12
	s_mov_b32 s15, s12
	s_add_co_i32 s14, s13, -1
	s_delay_alu instid0(SALU_CYCLE_1) | instskip(NEXT) | instid1(SALU_CYCLE_1)
	s_xor_b32 s18, s14, 0x80000000
	s_fmac_f32 s15, s18, s13
	s_mov_b32 s18, s12
	s_delay_alu instid0(SALU_CYCLE_2) | instskip(SKIP_2) | instid1(SALU_CYCLE_1)
	s_cmp_le_f32 s15, 0
	s_cselect_b32 s14, s14, s13
	s_add_co_i32 s15, s13, 1
	s_xor_b32 s19, s15, 0x80000000
	s_delay_alu instid0(SALU_CYCLE_1) | instskip(NEXT) | instid1(SALU_CYCLE_3)
	s_fmac_f32 s18, s19, s13
	s_cmp_gt_f32 s18, 0
	s_cselect_b32 s13, s15, s14
	s_cmp_lt_f32 s9, 0xf800000
	s_mul_f32 s9, s13, 0x37800000
	v_cmp_class_f32_e64 s14, s12, 0x260
	s_delay_alu instid0(SALU_CYCLE_2) | instskip(SKIP_2) | instid1(SALU_CYCLE_1)
	s_cselect_b32 s9, s9, s13
	s_and_b32 s13, s14, exec_lo
	s_cselect_b32 s9, s12, s9
	s_mul_f32 s13, s8, s9
.LBB18_125:                             ;   in Loop: Header=BB18_115 Depth=1
	s_delay_alu instid0(SALU_CYCLE_3) | instskip(NEXT) | instid1(VALU_DEP_1)
	v_cvt_f64_f32_e32 v[4:5], s13
	v_cmp_ge_f64_e32 vcc_lo, v[2:3], v[4:5]
	v_cndmask_b32_e64 v4, v7, s36, vcc_lo
	v_cndmask_b32_e64 v5, v6, s35, vcc_lo
	s_and_saveexec_b32 s8, s2
; %bb.126:                              ;   in Loop: Header=BB18_115 Depth=1
	s_delay_alu instid0(VALU_DEP_1)
	v_dual_mov_b32 v6, v5 :: v_dual_mov_b32 v7, v4
	v_mov_b32_e32 v8, s3
	ds_store_b64 v8, v[6:7]
; %bb.127:                              ;   in Loop: Header=BB18_115 Depth=1
	s_or_b32 exec_lo, exec_lo, s8
	s_mov_b32 s8, -1
	s_mov_b32 s3, 0
	s_branch .LBB18_117
.LBB18_128:                             ;   in Loop: Header=BB18_115 Depth=1
	s_or_b32 s3, s5, s4
	v_mov_b64_e32 v[4:5], s[4:5]
	s_bitset0_b32 s3, 31
	s_delay_alu instid0(SALU_CYCLE_1) | instskip(SKIP_2) | instid1(SALU_CYCLE_1)
	s_cmp_lg_u32 s3, 0
	s_mov_b32 s3, -1
	s_cselect_b32 s8, -1, 0
	s_and_not1_b32 vcc_lo, exec_lo, s8
                                        ; implicit-def: $sgpr4
	s_cbranch_vccnz .LBB18_118
.LBB18_129:                             ;   in Loop: Header=BB18_115 Depth=1
	s_add_co_i32 s4, s6, 1
	s_mov_b32 s5, exec_lo
	v_add_nc_u32_e32 v19, s4, v14
	s_delay_alu instid0(VALU_DEP_1)
	v_cmpx_gt_i32_e64 s29, v19
	s_cbranch_execz .LBB18_137
; %bb.130:                              ;   in Loop: Header=BB18_115 Depth=1
	v_mul_f32_e32 v6, v4, v4
	v_dual_mov_b32 v21, v17 :: v_dual_add_nc_u32 v20, s4, v16
	s_mov_b32 s8, 0
	s_delay_alu instid0(VALU_DEP_2) | instskip(NEXT) | instid1(VALU_DEP_1)
	v_fmac_f32_e32 v6, v5, v5
	v_div_scale_f32 v7, null, v6, v6, 1.0
	v_div_scale_f32 v10, vcc_lo, 1.0, v6, 1.0
	s_delay_alu instid0(VALU_DEP_2) | instskip(SKIP_1) | instid1(TRANS32_DEP_1)
	v_rcp_f32_e32 v8, v7
	v_nop
	v_fma_f32 v9, -v7, v8, 1.0
	s_delay_alu instid0(VALU_DEP_1) | instskip(NEXT) | instid1(VALU_DEP_1)
	v_fmac_f32_e32 v8, v9, v8
	v_mul_f32_e32 v9, v10, v8
	s_delay_alu instid0(VALU_DEP_1) | instskip(NEXT) | instid1(VALU_DEP_1)
	v_fma_f32 v11, -v7, v9, v10
	v_fmac_f32_e32 v9, v11, v8
	s_delay_alu instid0(VALU_DEP_1) | instskip(NEXT) | instid1(VALU_DEP_1)
	v_fma_f32 v7, -v7, v9, v10
	v_div_fmas_f32 v7, v7, v8, v9
	v_dual_mov_b32 v8, v4 :: v_dual_mov_b32 v9, v4
	v_cmp_gt_i32_e32 vcc_lo, s29, v20
	s_delay_alu instid0(VALU_DEP_3) | instskip(NEXT) | instid1(VALU_DEP_1)
	v_div_fixup_f32 v6, v7, v6, 1.0
	v_dual_mov_b32 v4, v5 :: v_dual_mov_b32 v7, v6
	s_branch .LBB18_132
.LBB18_131:                             ;   in Loop: Header=BB18_132 Depth=2
	s_or_b32 exec_lo, exec_lo, s9
	v_add_nc_u32_e32 v19, 32, v19
	v_add_nc_u32_e32 v21, 0x100, v21
	s_delay_alu instid0(VALU_DEP_2) | instskip(SKIP_1) | instid1(SALU_CYCLE_1)
	v_cmp_le_i32_e64 s3, s29, v19
	s_or_b32 s8, s3, s8
	s_and_not1_b32 exec_lo, exec_lo, s8
	s_cbranch_execz .LBB18_137
.LBB18_132:                             ;   Parent Loop BB18_115 Depth=1
                                        ; =>  This Loop Header: Depth=2
                                        ;       Child Loop BB18_136 Depth 3
	v_lshl_add_u32 v12, v19, 3, s7
	ds_load_b64 v[10:11], v12
	s_wait_dscnt 0x0
	v_pk_mul_f32 v[22:23], v[8:9], v[10:11] op_sel:[0,1] op_sel_hi:[1,0] neg_hi:[0,1]
	s_delay_alu instid0(VALU_DEP_1) | instskip(NEXT) | instid1(VALU_DEP_1)
	v_pk_fma_f32 v[10:11], v[10:11], v[4:5], v[22:23]
	v_pk_mul_f32 v[10:11], v[6:7], v[10:11]
	s_and_saveexec_b32 s3, s1
; %bb.133:                              ;   in Loop: Header=BB18_132 Depth=2
	ds_store_b64 v12, v[10:11]
; %bb.134:                              ;   in Loop: Header=BB18_132 Depth=2
	s_or_b32 exec_lo, exec_lo, s3
	s_and_saveexec_b32 s9, vcc_lo
	s_cbranch_execz .LBB18_131
; %bb.135:                              ;   in Loop: Header=BB18_132 Depth=2
	v_xor_b32_e32 v13, 0x80000000, v10
	v_dual_mov_b32 v12, v11 :: v_dual_mov_b32 v22, v18
	v_dual_mov_b32 v23, v21 :: v_dual_mov_b32 v24, v20
	s_mov_b32 s12, 0
.LBB18_136:                             ;   Parent Loop BB18_115 Depth=1
                                        ;     Parent Loop BB18_132 Depth=2
                                        ; =>    This Inner Loop Header: Depth=3
	ds_load_b64 v[26:27], v22
	ds_load_b64 v[28:29], v23
	v_add_nc_u32_e32 v24, 2, v24
	v_add_nc_u32_e32 v22, 0x210, v22
	s_delay_alu instid0(VALU_DEP_2) | instskip(SKIP_3) | instid1(VALU_DEP_1)
	v_cmp_le_i32_e64 s3, s29, v24
	s_or_b32 s12, s3, s12
	s_wait_dscnt 0x0
	v_pk_fma_f32 v[28:29], v[10:11], v[26:27], v[28:29] op_sel_hi:[1,0,1] neg_lo:[1,0,0] neg_hi:[1,0,0]
	v_pk_fma_f32 v[26:27], v[12:13], v[26:27], v[28:29] op_sel:[0,1,0]
	ds_store_b64 v23, v[26:27]
	v_add_nc_u32_e32 v23, 0x210, v23
	s_and_not1_b32 exec_lo, exec_lo, s12
	s_cbranch_execnz .LBB18_136
	s_branch .LBB18_131
.LBB18_137:                             ;   in Loop: Header=BB18_115 Depth=1
	s_or_b32 exec_lo, exec_lo, s5
	s_cbranch_execnz .LBB18_119
.LBB18_138:                             ;   in Loop: Header=BB18_115 Depth=1
	s_add_co_i32 s4, s6, 1
	s_mov_b32 s11, -1
	v_add_nc_u32_e32 v17, 0x110, v17
	v_add_nc_u32_e32 v18, 0x110, v18
	s_cmp_eq_u32 s4, s29
	s_cbranch_scc1 .LBB18_140
.LBB18_139:                             ;   in Loop: Header=BB18_115 Depth=1
	s_mov_b32 s6, s4
	s_branch .LBB18_115
.LBB18_140:
	s_wait_dscnt 0x0
	s_and_saveexec_b32 s1, s0
	s_cbranch_execz .LBB18_150
; %bb.141:
	s_mul_i32 s2, s34, s29
	v_bfe_u32 v1, v0, 10, 10
	v_add_nc_u32_e32 v2, s2, v14
	s_cmp_lg_u32 s30, 0
	s_mov_b32 s3, 0
	s_cselect_b32 s4, -1, 0
	v_cmp_gt_u32_e64 s0, s29, v1
	v_mul_lo_u32 v2, s29, v2
	v_mad_u32_u24 v3, 0x108, v1, v15
	s_lshl_b32 s5, s29, 5
	s_branch .LBB18_143
.LBB18_142:                             ;   in Loop: Header=BB18_143 Depth=1
	s_or_b32 exec_lo, exec_lo, s6
	v_add_nc_u32_e32 v14, 32, v14
	s_delay_alu instid0(VALU_DEP_3) | instskip(SKIP_1) | instid1(VALU_DEP_3)
	v_add_nc_u32_e32 v2, s5, v2
	v_add_nc_u32_e32 v3, 0x100, v3
	v_cmp_le_i32_e32 vcc_lo, s29, v14
	s_or_b32 s3, vcc_lo, s3
	s_delay_alu instid0(SALU_CYCLE_1)
	s_and_not1_b32 exec_lo, exec_lo, s3
	s_cbranch_execz .LBB18_150
.LBB18_143:                             ; =>This Loop Header: Depth=1
                                        ;     Child Loop BB18_146 Depth 2
	s_and_saveexec_b32 s6, s0
	s_cbranch_execz .LBB18_142
; %bb.144:                              ;   in Loop: Header=BB18_143 Depth=1
	v_dual_mov_b32 v4, v3 :: v_dual_mov_b32 v5, v1
	s_mov_b32 s7, 0
	s_branch .LBB18_146
.LBB18_145:                             ;   in Loop: Header=BB18_146 Depth=2
	ds_load_b64 v[8:9], v4
	v_add_nc_u32_e32 v5, 2, v5
	v_add_nc_u32_e32 v4, 0x210, v4
	s_delay_alu instid0(VALU_DEP_2)
	v_cmp_le_i32_e32 vcc_lo, s29, v5
	s_or_b32 s7, vcc_lo, s7
	s_wait_dscnt 0x0
	global_store_b64 v6, v[8:9], s[16:17] scale_offset
	s_wait_xcnt 0x0
	s_and_not1_b32 exec_lo, exec_lo, s7
	s_cbranch_execz .LBB18_142
.LBB18_146:                             ;   Parent Loop BB18_143 Depth=1
                                        ; =>  This Inner Loop Header: Depth=2
	s_and_b32 vcc_lo, exec_lo, s4
	s_cbranch_vccz .LBB18_148
; %bb.147:                              ;   in Loop: Header=BB18_146 Depth=2
	v_add_nc_u32_e32 v6, s2, v5
	s_delay_alu instid0(VALU_DEP_1)
	v_mad_u32 v6, v6, s29, v14
	s_cbranch_execnz .LBB18_145
	s_branch .LBB18_149
.LBB18_148:                             ;   in Loop: Header=BB18_146 Depth=2
                                        ; implicit-def: $vgpr6
.LBB18_149:                             ;   in Loop: Header=BB18_146 Depth=2
	v_add_nc_u32_e32 v6, v2, v5
	s_branch .LBB18_145
.LBB18_150:
	s_or_b32 exec_lo, exec_lo, s1
.LBB18_151:
	s_add_co_i32 s4, s34, 1
	s_delay_alu instid0(SALU_CYCLE_1)
	s_cmp_ge_i32 s4, s33
	s_cbranch_scc1 .LBB18_203
; %bb.152:
	v_and_b32_e32 v1, 0x3ff, v0
	s_wait_dscnt 0x0
	v_bfe_u32 v2, v0, 10, 10
	s_cmp_lg_u32 s30, 0
	s_movk_i32 s3, 0x2108
	s_cselect_b32 s5, -1, 0
	v_mad_u32 v4, s29, s4, v1
	v_dual_add_nc_u32 v3, 1, v2 :: v_dual_lshlrev_b32 v8, 3, v2
	s_cmp_gt_i32 s29, 0
	v_mul_u32_u24_e32 v5, 0x108, v2
	s_cselect_b32 s6, -1, 0
	s_cmp_lg_u32 s29, 1
	v_dual_lshlrev_b32 v6, 3, v1 :: v_dual_add_nc_u32 v7, 8, v8
	v_mad_u32_u24 v9, 0x108, v1, v8
	s_cselect_b32 s7, -1, 0
	s_and_b32 s8, s29, 0x7ffffffe
	s_bitcmp1_b32 s29, 0
	v_cmp_gt_i32_e64 s0, s29, v1
	v_cmp_le_i32_e64 s1, s29, v1
	v_cmp_gt_i32_e64 s2, s29, v2
	v_mul_lo_u32 v4, s29, v4
	v_add3_u32 v5, v5, v6, 0x2100
	v_add_nc_u32_e32 v6, 0x2108, v9
	v_add_nc_u32_e32 v8, 0x118, v8
	;; [unrolled: 1-line block ×3, first 2 shown]
	v_mad_u32_u24 v10, 0x108, v1, s3
	s_cselect_b32 s9, -1, 0
	s_mul_i32 s12, s29, s29
	s_lshl_b32 s13, s29, 5
	s_branch .LBB18_155
.LBB18_153:                             ;   in Loop: Header=BB18_155 Depth=1
	s_or_b32 exec_lo, exec_lo, s14
.LBB18_154:                             ;   in Loop: Header=BB18_155 Depth=1
	s_delay_alu instid0(SALU_CYCLE_1) | instskip(SKIP_2) | instid1(SALU_CYCLE_1)
	s_or_b32 exec_lo, exec_lo, s3
	v_add_nc_u32_e32 v4, s12, v4
	s_add_co_i32 s4, s4, 1
	s_cmp_ge_i32 s4, s33
	s_cbranch_scc1 .LBB18_203
.LBB18_155:                             ; =>This Loop Header: Depth=1
                                        ;     Child Loop BB18_158 Depth 2
                                        ;       Child Loop BB18_161 Depth 3
                                        ;     Child Loop BB18_169 Depth 2
                                        ;       Child Loop BB18_172 Depth 3
                                        ;         Child Loop BB18_174 Depth 4
                                        ;       Child Loop BB18_177 Depth 3
                                        ;         Child Loop BB18_179 Depth 4
                                        ;     Child Loop BB18_186 Depth 2
                                        ;       Child Loop BB18_188 Depth 3
                                        ;     Child Loop BB18_196 Depth 2
                                        ;       Child Loop BB18_199 Depth 3
	s_wait_storecnt 0x0
	s_and_saveexec_b32 s3, s0
	s_cbranch_execz .LBB18_165
; %bb.156:                              ;   in Loop: Header=BB18_155 Depth=1
	v_dual_mov_b32 v11, v5 :: v_dual_mov_b32 v12, v4
	v_mov_b32_e32 v13, v1
	s_mul_i32 s14, s4, s29
	s_mov_b32 s15, 0
	s_branch .LBB18_158
.LBB18_157:                             ;   in Loop: Header=BB18_158 Depth=2
	s_or_b32 exec_lo, exec_lo, s18
	v_dual_add_nc_u32 v13, 32, v13 :: v_dual_add_nc_u32 v12, s13, v12
	v_add_nc_u32_e32 v11, 0x100, v11
	s_delay_alu instid0(VALU_DEP_2) | instskip(SKIP_1) | instid1(SALU_CYCLE_1)
	v_cmp_le_i32_e32 vcc_lo, s29, v13
	s_or_b32 s15, vcc_lo, s15
	s_and_not1_b32 exec_lo, exec_lo, s15
	s_cbranch_execz .LBB18_165
.LBB18_158:                             ;   Parent Loop BB18_155 Depth=1
                                        ; =>  This Loop Header: Depth=2
                                        ;       Child Loop BB18_161 Depth 3
	s_and_saveexec_b32 s18, s2
	s_cbranch_execz .LBB18_157
; %bb.159:                              ;   in Loop: Header=BB18_158 Depth=2
	v_dual_mov_b32 v14, v11 :: v_dual_mov_b32 v15, v2
	s_mov_b32 s19, 0
	s_branch .LBB18_161
.LBB18_160:                             ;   in Loop: Header=BB18_161 Depth=3
	global_load_b64 v[16:17], v16, s[16:17] scale_offset
	v_add_nc_u32_e32 v15, 2, v15
	s_delay_alu instid0(VALU_DEP_1)
	v_cmp_le_i32_e32 vcc_lo, s29, v15
	s_or_b32 s19, vcc_lo, s19
	s_wait_loadcnt 0x0
	ds_store_b64 v14, v[16:17]
	v_add_nc_u32_e32 v14, 0x210, v14
	s_wait_xcnt 0x0
	s_and_not1_b32 exec_lo, exec_lo, s19
	s_cbranch_execz .LBB18_157
.LBB18_161:                             ;   Parent Loop BB18_155 Depth=1
                                        ;     Parent Loop BB18_158 Depth=2
                                        ; =>    This Inner Loop Header: Depth=3
	s_and_b32 vcc_lo, exec_lo, s5
	s_cbranch_vccz .LBB18_163
; %bb.162:                              ;   in Loop: Header=BB18_161 Depth=3
	v_add_nc_u32_e32 v16, s14, v15
	s_delay_alu instid0(VALU_DEP_1)
	v_mad_u32 v16, v16, s29, v13
	s_cbranch_execnz .LBB18_160
	s_branch .LBB18_164
.LBB18_163:                             ;   in Loop: Header=BB18_161 Depth=3
                                        ; implicit-def: $vgpr16
.LBB18_164:                             ;   in Loop: Header=BB18_161 Depth=3
	v_add_nc_u32_e32 v16, v12, v15
	s_branch .LBB18_160
.LBB18_165:                             ;   in Loop: Header=BB18_155 Depth=1
	s_or_b32 exec_lo, exec_lo, s3
	s_delay_alu instid0(SALU_CYCLE_1)
	s_and_not1_b32 vcc_lo, exec_lo, s6
	s_wait_dscnt 0x0
	s_cbranch_vccnz .LBB18_189
; %bb.166:                              ;   in Loop: Header=BB18_155 Depth=1
	s_and_not1_b32 vcc_lo, exec_lo, s7
	s_mov_b32 s3, 0
	s_cbranch_vccnz .LBB18_180
; %bb.167:                              ;   in Loop: Header=BB18_155 Depth=1
	v_dual_mov_b32 v11, v9 :: v_dual_mov_b32 v12, v8
	v_dual_mov_b32 v13, v7 :: v_dual_mov_b32 v14, v6
	s_mov_b32 s14, 0
	s_branch .LBB18_169
.LBB18_168:                             ;   in Loop: Header=BB18_169 Depth=2
	s_or_b32 exec_lo, exec_lo, s15
	v_dual_add_nc_u32 v14, 16, v14 :: v_dual_add_nc_u32 v11, 16, v11
	v_add_nc_u32_e32 v13, 0x220, v13
	v_add_nc_u32_e32 v12, 0x220, v12
	s_add_co_i32 s14, s14, 2
	s_mov_b32 s3, s8
	s_cmp_eq_u32 s14, s8
	s_cbranch_scc1 .LBB18_180
.LBB18_169:                             ;   Parent Loop BB18_155 Depth=1
                                        ; =>  This Loop Header: Depth=2
                                        ;       Child Loop BB18_172 Depth 3
                                        ;         Child Loop BB18_174 Depth 4
                                        ;       Child Loop BB18_177 Depth 3
                                        ;         Child Loop BB18_179 Depth 4
	s_and_saveexec_b32 s15, s0
	s_cbranch_execz .LBB18_168
; %bb.170:                              ;   in Loop: Header=BB18_169 Depth=2
	v_dual_mov_b32 v16, v14 :: v_dual_add_nc_u32 v15, s14, v3
	v_mov_b32_e32 v17, v1
	s_lshl_b32 s18, s14, 3
	s_mov_b32 s19, 0
	s_addk_co_i32 s18, 0x2100
	v_cmp_gt_i32_e32 vcc_lo, s29, v15
	s_branch .LBB18_172
.LBB18_171:                             ;   in Loop: Header=BB18_172 Depth=3
	s_or_b32 exec_lo, exec_lo, s20
	v_add_nc_u32_e32 v17, 32, v17
	v_add_nc_u32_e32 v16, 0x2100, v16
	s_delay_alu instid0(VALU_DEP_2) | instskip(SKIP_1) | instid1(SALU_CYCLE_1)
	v_cmp_le_i32_e64 s3, s29, v17
	s_or_b32 s19, s3, s19
	s_and_not1_b32 exec_lo, exec_lo, s19
	s_cbranch_execz .LBB18_175
.LBB18_172:                             ;   Parent Loop BB18_155 Depth=1
                                        ;     Parent Loop BB18_169 Depth=2
                                        ; =>    This Loop Header: Depth=3
                                        ;         Child Loop BB18_174 Depth 4
	s_and_saveexec_b32 s20, vcc_lo
	s_cbranch_execz .LBB18_171
; %bb.173:                              ;   in Loop: Header=BB18_172 Depth=3
	v_mad_u32 v18, 0x108, v17, s18
	v_dual_mov_b32 v19, v13 :: v_dual_mov_b32 v20, v16
	v_mov_b32_e32 v21, v15
	s_mov_b32 s21, 0
.LBB18_174:                             ;   Parent Loop BB18_155 Depth=1
                                        ;     Parent Loop BB18_169 Depth=2
                                        ;       Parent Loop BB18_172 Depth=3
                                        ; =>      This Inner Loop Header: Depth=4
	ds_load_b64 v[22:23], v18
	ds_load_b64 v[24:25], v19
	;; [unrolled: 1-line block ×3, first 2 shown]
	v_dual_add_nc_u32 v21, 2, v21 :: v_dual_add_nc_u32 v19, 16, v19
	s_wait_dscnt 0x0
	v_pk_fma_f32 v[26:27], v[24:25], v[22:23], v[26:27] op_sel_hi:[1,0,1] neg_lo:[1,0,0] neg_hi:[1,0,0]
	s_delay_alu instid0(VALU_DEP_1) | instskip(SKIP_4) | instid1(SALU_CYCLE_1)
	v_pk_fma_f32 v[22:23], v[24:25], v[22:23], v[26:27] op_sel:[1,1,0] op_sel_hi:[0,1,1] neg_hi:[1,0,0]
	ds_store_b64 v20, v[22:23]
	v_add_nc_u32_e32 v20, 16, v20
	v_cmp_le_i32_e64 s3, s29, v21
	s_or_b32 s21, s3, s21
	s_and_not1_b32 exec_lo, exec_lo, s21
	s_cbranch_execnz .LBB18_174
	s_branch .LBB18_171
.LBB18_175:                             ;   in Loop: Header=BB18_169 Depth=2
	s_or_b32 exec_lo, exec_lo, s19
	v_add3_u32 v15, v3, s14, 1
	v_dual_mov_b32 v16, v11 :: v_dual_mov_b32 v17, v1
	s_mov_b32 s19, 0
	s_delay_alu instid0(VALU_DEP_2)
	v_cmp_gt_i32_e32 vcc_lo, s29, v15
	s_branch .LBB18_177
.LBB18_176:                             ;   in Loop: Header=BB18_177 Depth=3
	s_or_b32 exec_lo, exec_lo, s20
	v_add_nc_u32_e32 v17, 32, v17
	v_add_nc_u32_e32 v16, 0x2100, v16
	s_delay_alu instid0(VALU_DEP_2) | instskip(SKIP_1) | instid1(SALU_CYCLE_1)
	v_cmp_le_i32_e64 s3, s29, v17
	s_or_b32 s19, s3, s19
	s_and_not1_b32 exec_lo, exec_lo, s19
	s_cbranch_execz .LBB18_168
.LBB18_177:                             ;   Parent Loop BB18_155 Depth=1
                                        ;     Parent Loop BB18_169 Depth=2
                                        ; =>    This Loop Header: Depth=3
                                        ;         Child Loop BB18_179 Depth 4
	s_and_saveexec_b32 s20, vcc_lo
	s_cbranch_execz .LBB18_176
; %bb.178:                              ;   in Loop: Header=BB18_177 Depth=3
	v_mad_u32 v18, 0x108, v17, s18
	v_dual_mov_b32 v19, v16 :: v_dual_mov_b32 v20, v12
	v_mov_b32_e32 v21, v15
	s_mov_b32 s21, 0
.LBB18_179:                             ;   Parent Loop BB18_155 Depth=1
                                        ;     Parent Loop BB18_169 Depth=2
                                        ;       Parent Loop BB18_177 Depth=3
                                        ; =>      This Inner Loop Header: Depth=4
	ds_load_b64 v[22:23], v18 offset:8
	ds_load_b64 v[24:25], v20
	ds_load_b64 v[26:27], v19
	v_dual_add_nc_u32 v21, 2, v21 :: v_dual_add_nc_u32 v20, 16, v20
	s_delay_alu instid0(VALU_DEP_1) | instskip(SKIP_3) | instid1(VALU_DEP_1)
	v_cmp_le_i32_e64 s3, s29, v21
	s_or_b32 s21, s3, s21
	s_wait_dscnt 0x0
	v_pk_fma_f32 v[26:27], v[24:25], v[22:23], v[26:27] op_sel_hi:[1,0,1] neg_lo:[1,0,0] neg_hi:[1,0,0]
	v_pk_fma_f32 v[22:23], v[24:25], v[22:23], v[26:27] op_sel:[1,1,0] op_sel_hi:[0,1,1] neg_hi:[1,0,0]
	ds_store_b64 v19, v[22:23]
	v_add_nc_u32_e32 v19, 16, v19
	s_and_not1_b32 exec_lo, exec_lo, s21
	s_cbranch_execnz .LBB18_179
	s_branch .LBB18_176
.LBB18_180:                             ;   in Loop: Header=BB18_155 Depth=1
	s_and_not1_b32 vcc_lo, exec_lo, s9
	s_mov_b32 s15, -1
	s_cbranch_vccnz .LBB18_190
; %bb.181:                              ;   in Loop: Header=BB18_155 Depth=1
	s_and_saveexec_b32 s14, s1
	s_delay_alu instid0(SALU_CYCLE_1)
	s_xor_b32 s14, exec_lo, s14
	s_cbranch_execz .LBB18_183
; %bb.182:                              ;   in Loop: Header=BB18_155 Depth=1
	s_wait_dscnt 0x0
.LBB18_183:                             ;   in Loop: Header=BB18_155 Depth=1
	s_or_saveexec_b32 s14, s14
	s_mov_b32 s15, 0
	s_xor_b32 exec_lo, exec_lo, s14
	s_cbranch_execz .LBB18_192
; %bb.184:                              ;   in Loop: Header=BB18_155 Depth=1
	v_mad_u32 v12, 0x110, s3, v7
	v_dual_add_nc_u32 v11, s3, v3 :: v_dual_add_nc_u32 v13, s3, v2
	v_mov_b32_e32 v14, v1
	s_lshl_b32 s18, s3, 3
	s_delay_alu instid0(SALU_CYCLE_1) | instskip(NEXT) | instid1(VALU_DEP_2)
	s_addk_co_i32 s18, 0x2100
	v_lshl_add_u32 v13, v13, 3, v10
	v_cmp_gt_i32_e32 vcc_lo, s29, v11
	s_branch .LBB18_186
.LBB18_185:                             ;   in Loop: Header=BB18_186 Depth=2
	s_or_b32 exec_lo, exec_lo, s19
	v_add_nc_u32_e32 v14, 32, v14
	v_add_nc_u32_e32 v13, 0x2100, v13
	s_delay_alu instid0(VALU_DEP_2) | instskip(SKIP_1) | instid1(SALU_CYCLE_1)
	v_cmp_le_i32_e64 s3, s29, v14
	s_or_b32 s15, s3, s15
	s_and_not1_b32 exec_lo, exec_lo, s15
	s_cbranch_execz .LBB18_191
.LBB18_186:                             ;   Parent Loop BB18_155 Depth=1
                                        ; =>  This Loop Header: Depth=2
                                        ;       Child Loop BB18_188 Depth 3
	s_and_saveexec_b32 s19, vcc_lo
	s_cbranch_execz .LBB18_185
; %bb.187:                              ;   in Loop: Header=BB18_186 Depth=2
	v_mad_u32 v15, 0x108, v14, s18
	v_dual_mov_b32 v16, v12 :: v_dual_mov_b32 v17, v13
	v_mov_b32_e32 v18, v11
	s_mov_b32 s20, 0
.LBB18_188:                             ;   Parent Loop BB18_155 Depth=1
                                        ;     Parent Loop BB18_186 Depth=2
                                        ; =>    This Inner Loop Header: Depth=3
	ds_load_b64 v[20:21], v15
	ds_load_b64 v[22:23], v16
	;; [unrolled: 1-line block ×3, first 2 shown]
	v_dual_add_nc_u32 v18, 2, v18 :: v_dual_add_nc_u32 v16, 16, v16
	s_wait_dscnt 0x0
	v_pk_fma_f32 v[24:25], v[22:23], v[20:21], v[24:25] op_sel_hi:[1,0,1] neg_lo:[1,0,0] neg_hi:[1,0,0]
	s_delay_alu instid0(VALU_DEP_1) | instskip(SKIP_4) | instid1(SALU_CYCLE_1)
	v_pk_fma_f32 v[20:21], v[22:23], v[20:21], v[24:25] op_sel:[1,1,0] op_sel_hi:[0,1,1] neg_hi:[1,0,0]
	ds_store_b64 v17, v[20:21]
	v_add_nc_u32_e32 v17, 16, v17
	v_cmp_le_i32_e64 s3, s29, v18
	s_or_b32 s20, s3, s20
	s_and_not1_b32 exec_lo, exec_lo, s20
	s_cbranch_execnz .LBB18_188
	s_branch .LBB18_185
.LBB18_189:                             ;   in Loop: Header=BB18_155 Depth=1
	s_mov_b32 s15, -1
.LBB18_190:                             ;   in Loop: Header=BB18_155 Depth=1
	s_delay_alu instid0(SALU_CYCLE_1) | instskip(NEXT) | instid1(SALU_CYCLE_1)
	s_and_saveexec_b32 s3, s15
	s_xor_b32 s3, exec_lo, s3
	s_cbranch_execz .LBB18_154
	s_branch .LBB18_193
.LBB18_191:                             ;   in Loop: Header=BB18_155 Depth=1
	s_or_b32 exec_lo, exec_lo, s15
	s_delay_alu instid0(SALU_CYCLE_1)
	s_mov_b32 s15, exec_lo
.LBB18_192:                             ;   in Loop: Header=BB18_155 Depth=1
	s_or_b32 exec_lo, exec_lo, s14
	s_and_saveexec_b32 s3, s15
	s_delay_alu instid0(SALU_CYCLE_1)
	s_xor_b32 s3, exec_lo, s3
	s_cbranch_execz .LBB18_154
.LBB18_193:                             ;   in Loop: Header=BB18_155 Depth=1
	s_wait_dscnt 0x0
	s_and_saveexec_b32 s14, s0
	s_cbranch_execz .LBB18_153
; %bb.194:                              ;   in Loop: Header=BB18_155 Depth=1
	v_dual_mov_b32 v11, v5 :: v_dual_mov_b32 v12, v4
	v_mov_b32_e32 v13, v1
	s_mul_i32 s15, s4, s29
	s_mov_b32 s18, 0
	s_branch .LBB18_196
.LBB18_195:                             ;   in Loop: Header=BB18_196 Depth=2
	s_or_b32 exec_lo, exec_lo, s19
	v_dual_add_nc_u32 v13, 32, v13 :: v_dual_add_nc_u32 v12, s13, v12
	v_add_nc_u32_e32 v11, 0x100, v11
	s_delay_alu instid0(VALU_DEP_2) | instskip(SKIP_1) | instid1(SALU_CYCLE_1)
	v_cmp_le_i32_e32 vcc_lo, s29, v13
	s_or_b32 s18, vcc_lo, s18
	s_and_not1_b32 exec_lo, exec_lo, s18
	s_cbranch_execz .LBB18_153
.LBB18_196:                             ;   Parent Loop BB18_155 Depth=1
                                        ; =>  This Loop Header: Depth=2
                                        ;       Child Loop BB18_199 Depth 3
	s_and_saveexec_b32 s19, s2
	s_cbranch_execz .LBB18_195
; %bb.197:                              ;   in Loop: Header=BB18_196 Depth=2
	v_dual_mov_b32 v14, v11 :: v_dual_mov_b32 v15, v2
	s_mov_b32 s20, 0
	s_branch .LBB18_199
.LBB18_198:                             ;   in Loop: Header=BB18_199 Depth=3
	ds_load_b64 v[18:19], v14
	v_add_nc_u32_e32 v15, 2, v15
	v_add_nc_u32_e32 v14, 0x210, v14
	s_delay_alu instid0(VALU_DEP_2)
	v_cmp_le_i32_e32 vcc_lo, s29, v15
	s_or_b32 s20, vcc_lo, s20
	s_wait_dscnt 0x0
	global_store_b64 v16, v[18:19], s[16:17] scale_offset
	s_wait_xcnt 0x0
	s_and_not1_b32 exec_lo, exec_lo, s20
	s_cbranch_execz .LBB18_195
.LBB18_199:                             ;   Parent Loop BB18_155 Depth=1
                                        ;     Parent Loop BB18_196 Depth=2
                                        ; =>    This Inner Loop Header: Depth=3
	s_and_b32 vcc_lo, exec_lo, s5
	s_cbranch_vccz .LBB18_201
; %bb.200:                              ;   in Loop: Header=BB18_199 Depth=3
	v_add_nc_u32_e32 v16, s15, v15
	s_delay_alu instid0(VALU_DEP_1)
	v_mad_u32 v16, v16, s29, v13
	s_cbranch_execnz .LBB18_198
	s_branch .LBB18_202
.LBB18_201:                             ;   in Loop: Header=BB18_199 Depth=3
                                        ; implicit-def: $vgpr16
.LBB18_202:                             ;   in Loop: Header=BB18_199 Depth=3
	v_add_nc_u32_e32 v16, v12, v15
	s_branch .LBB18_198
.LBB18_203:
	v_and_b32_e32 v0, 0xfffff, v0
	s_mov_b32 s0, exec_lo
	s_delay_alu instid0(VALU_DEP_1)
	v_cmpx_eq_u32_e32 0, v0
	s_cbranch_execz .LBB18_207
; %bb.204:
	v_dual_mov_b32 v0, 0 :: v_dual_mov_b32 v1, 1
	s_add_nc_u64 s[0:1], s[24:25], s[26:27]
	s_and_not1_b32 vcc_lo, exec_lo, s11
	global_wb scope:SCOPE_DEV
	s_wait_storecnt 0x0
	s_wait_loadcnt_dscnt 0x0
	global_store_b32 v0, v1, s[0:1] scope:SCOPE_DEV
	s_cbranch_vccnz .LBB18_207
; %bb.205:
	s_wait_xcnt 0x0
	v_mbcnt_lo_u32_b32 v0, exec_lo, 0
	s_delay_alu instid0(VALU_DEP_1)
	v_cmp_eq_u32_e32 vcc_lo, 0, v0
	s_and_b32 exec_lo, exec_lo, vcc_lo
	s_cbranch_execz .LBB18_207
; %bb.206:
	s_add_co_i32 s0, s28, s10
	s_delay_alu instid0(SALU_CYCLE_1)
	v_dual_mov_b32 v0, 0 :: v_dual_mov_b32 v1, s0
	global_atomic_min_i32 v0, v1, s[22:23] scope:SCOPE_DEV
.LBB18_207:
	s_endpgm
	.section	.rodata,"a",@progbits
	.p2align	6, 0x0
	.amdhsa_kernel _ZN9rocsparseL12bsrilu0_9_32ILj64ELj64ELj32E21rocsparse_complex_numIfEEEv20rocsparse_direction_iPKiS5_PT2_S5_iPiS5_S8_21rocsparse_index_base_imNS_24const_host_device_scalarIfEENSA_IdEENSA_IS6_EEb
		.amdhsa_group_segment_fixed_size 16896
		.amdhsa_private_segment_fixed_size 0
		.amdhsa_kernarg_size 116
		.amdhsa_user_sgpr_count 2
		.amdhsa_user_sgpr_dispatch_ptr 0
		.amdhsa_user_sgpr_queue_ptr 0
		.amdhsa_user_sgpr_kernarg_segment_ptr 1
		.amdhsa_user_sgpr_dispatch_id 0
		.amdhsa_user_sgpr_kernarg_preload_length 0
		.amdhsa_user_sgpr_kernarg_preload_offset 0
		.amdhsa_user_sgpr_private_segment_size 0
		.amdhsa_wavefront_size32 1
		.amdhsa_uses_dynamic_stack 0
		.amdhsa_enable_private_segment 0
		.amdhsa_system_sgpr_workgroup_id_x 1
		.amdhsa_system_sgpr_workgroup_id_y 0
		.amdhsa_system_sgpr_workgroup_id_z 0
		.amdhsa_system_sgpr_workgroup_info 0
		.amdhsa_system_vgpr_workitem_id 1
		.amdhsa_next_free_vgpr 113
		.amdhsa_next_free_sgpr 54
		.amdhsa_named_barrier_count 0
		.amdhsa_reserve_vcc 1
		.amdhsa_float_round_mode_32 0
		.amdhsa_float_round_mode_16_64 0
		.amdhsa_float_denorm_mode_32 3
		.amdhsa_float_denorm_mode_16_64 3
		.amdhsa_fp16_overflow 0
		.amdhsa_memory_ordered 1
		.amdhsa_forward_progress 1
		.amdhsa_inst_pref_size 55
		.amdhsa_round_robin_scheduling 0
		.amdhsa_exception_fp_ieee_invalid_op 0
		.amdhsa_exception_fp_denorm_src 0
		.amdhsa_exception_fp_ieee_div_zero 0
		.amdhsa_exception_fp_ieee_overflow 0
		.amdhsa_exception_fp_ieee_underflow 0
		.amdhsa_exception_fp_ieee_inexact 0
		.amdhsa_exception_int_div_zero 0
	.end_amdhsa_kernel
	.section	.text._ZN9rocsparseL12bsrilu0_9_32ILj64ELj64ELj32E21rocsparse_complex_numIfEEEv20rocsparse_direction_iPKiS5_PT2_S5_iPiS5_S8_21rocsparse_index_base_imNS_24const_host_device_scalarIfEENSA_IdEENSA_IS6_EEb,"axG",@progbits,_ZN9rocsparseL12bsrilu0_9_32ILj64ELj64ELj32E21rocsparse_complex_numIfEEEv20rocsparse_direction_iPKiS5_PT2_S5_iPiS5_S8_21rocsparse_index_base_imNS_24const_host_device_scalarIfEENSA_IdEENSA_IS6_EEb,comdat
.Lfunc_end18:
	.size	_ZN9rocsparseL12bsrilu0_9_32ILj64ELj64ELj32E21rocsparse_complex_numIfEEEv20rocsparse_direction_iPKiS5_PT2_S5_iPiS5_S8_21rocsparse_index_base_imNS_24const_host_device_scalarIfEENSA_IdEENSA_IS6_EEb, .Lfunc_end18-_ZN9rocsparseL12bsrilu0_9_32ILj64ELj64ELj32E21rocsparse_complex_numIfEEEv20rocsparse_direction_iPKiS5_PT2_S5_iPiS5_S8_21rocsparse_index_base_imNS_24const_host_device_scalarIfEENSA_IdEENSA_IS6_EEb
                                        ; -- End function
	.set _ZN9rocsparseL12bsrilu0_9_32ILj64ELj64ELj32E21rocsparse_complex_numIfEEEv20rocsparse_direction_iPKiS5_PT2_S5_iPiS5_S8_21rocsparse_index_base_imNS_24const_host_device_scalarIfEENSA_IdEENSA_IS6_EEb.num_vgpr, 62
	.set _ZN9rocsparseL12bsrilu0_9_32ILj64ELj64ELj32E21rocsparse_complex_numIfEEEv20rocsparse_direction_iPKiS5_PT2_S5_iPiS5_S8_21rocsparse_index_base_imNS_24const_host_device_scalarIfEENSA_IdEENSA_IS6_EEb.num_agpr, 0
	.set _ZN9rocsparseL12bsrilu0_9_32ILj64ELj64ELj32E21rocsparse_complex_numIfEEEv20rocsparse_direction_iPKiS5_PT2_S5_iPiS5_S8_21rocsparse_index_base_imNS_24const_host_device_scalarIfEENSA_IdEENSA_IS6_EEb.numbered_sgpr, 54
	.set _ZN9rocsparseL12bsrilu0_9_32ILj64ELj64ELj32E21rocsparse_complex_numIfEEEv20rocsparse_direction_iPKiS5_PT2_S5_iPiS5_S8_21rocsparse_index_base_imNS_24const_host_device_scalarIfEENSA_IdEENSA_IS6_EEb.num_named_barrier, 0
	.set _ZN9rocsparseL12bsrilu0_9_32ILj64ELj64ELj32E21rocsparse_complex_numIfEEEv20rocsparse_direction_iPKiS5_PT2_S5_iPiS5_S8_21rocsparse_index_base_imNS_24const_host_device_scalarIfEENSA_IdEENSA_IS6_EEb.private_seg_size, 0
	.set _ZN9rocsparseL12bsrilu0_9_32ILj64ELj64ELj32E21rocsparse_complex_numIfEEEv20rocsparse_direction_iPKiS5_PT2_S5_iPiS5_S8_21rocsparse_index_base_imNS_24const_host_device_scalarIfEENSA_IdEENSA_IS6_EEb.uses_vcc, 1
	.set _ZN9rocsparseL12bsrilu0_9_32ILj64ELj64ELj32E21rocsparse_complex_numIfEEEv20rocsparse_direction_iPKiS5_PT2_S5_iPiS5_S8_21rocsparse_index_base_imNS_24const_host_device_scalarIfEENSA_IdEENSA_IS6_EEb.uses_flat_scratch, 0
	.set _ZN9rocsparseL12bsrilu0_9_32ILj64ELj64ELj32E21rocsparse_complex_numIfEEEv20rocsparse_direction_iPKiS5_PT2_S5_iPiS5_S8_21rocsparse_index_base_imNS_24const_host_device_scalarIfEENSA_IdEENSA_IS6_EEb.has_dyn_sized_stack, 0
	.set _ZN9rocsparseL12bsrilu0_9_32ILj64ELj64ELj32E21rocsparse_complex_numIfEEEv20rocsparse_direction_iPKiS5_PT2_S5_iPiS5_S8_21rocsparse_index_base_imNS_24const_host_device_scalarIfEENSA_IdEENSA_IS6_EEb.has_recursion, 0
	.set _ZN9rocsparseL12bsrilu0_9_32ILj64ELj64ELj32E21rocsparse_complex_numIfEEEv20rocsparse_direction_iPKiS5_PT2_S5_iPiS5_S8_21rocsparse_index_base_imNS_24const_host_device_scalarIfEENSA_IdEENSA_IS6_EEb.has_indirect_call, 0
	.section	.AMDGPU.csdata,"",@progbits
; Kernel info:
; codeLenInByte = 6924
; TotalNumSgprs: 56
; NumVgprs: 62
; ScratchSize: 0
; MemoryBound: 0
; FloatMode: 240
; IeeeMode: 1
; LDSByteSize: 16896 bytes/workgroup (compile time only)
; SGPRBlocks: 0
; VGPRBlocks: 7
; NumSGPRsForWavesPerEU: 56
; NumVGPRsForWavesPerEU: 113
; NamedBarCnt: 0
; Occupancy: 8
; WaveLimiterHint : 1
; COMPUTE_PGM_RSRC2:SCRATCH_EN: 0
; COMPUTE_PGM_RSRC2:USER_SGPR: 2
; COMPUTE_PGM_RSRC2:TRAP_HANDLER: 0
; COMPUTE_PGM_RSRC2:TGID_X_EN: 1
; COMPUTE_PGM_RSRC2:TGID_Y_EN: 0
; COMPUTE_PGM_RSRC2:TGID_Z_EN: 0
; COMPUTE_PGM_RSRC2:TIDIG_COMP_CNT: 1
	.section	.text._ZN9rocsparseL13bsrilu0_33_64ILj64ELj64ELj64E21rocsparse_complex_numIfEEEv20rocsparse_direction_iPKiS5_PT2_S5_iPiS5_S8_21rocsparse_index_base_imNS_24const_host_device_scalarIfEENSA_IdEENSA_IS6_EEb,"axG",@progbits,_ZN9rocsparseL13bsrilu0_33_64ILj64ELj64ELj64E21rocsparse_complex_numIfEEEv20rocsparse_direction_iPKiS5_PT2_S5_iPiS5_S8_21rocsparse_index_base_imNS_24const_host_device_scalarIfEENSA_IdEENSA_IS6_EEb,comdat
	.globl	_ZN9rocsparseL13bsrilu0_33_64ILj64ELj64ELj64E21rocsparse_complex_numIfEEEv20rocsparse_direction_iPKiS5_PT2_S5_iPiS5_S8_21rocsparse_index_base_imNS_24const_host_device_scalarIfEENSA_IdEENSA_IS6_EEb ; -- Begin function _ZN9rocsparseL13bsrilu0_33_64ILj64ELj64ELj64E21rocsparse_complex_numIfEEEv20rocsparse_direction_iPKiS5_PT2_S5_iPiS5_S8_21rocsparse_index_base_imNS_24const_host_device_scalarIfEENSA_IdEENSA_IS6_EEb
	.p2align	8
	.type	_ZN9rocsparseL13bsrilu0_33_64ILj64ELj64ELj64E21rocsparse_complex_numIfEEEv20rocsparse_direction_iPKiS5_PT2_S5_iPiS5_S8_21rocsparse_index_base_imNS_24const_host_device_scalarIfEENSA_IdEENSA_IS6_EEb,@function
_ZN9rocsparseL13bsrilu0_33_64ILj64ELj64ELj64E21rocsparse_complex_numIfEEEv20rocsparse_direction_iPKiS5_PT2_S5_iPiS5_S8_21rocsparse_index_base_imNS_24const_host_device_scalarIfEENSA_IdEENSA_IS6_EEb: ; @_ZN9rocsparseL13bsrilu0_33_64ILj64ELj64ELj64E21rocsparse_complex_numIfEEEv20rocsparse_direction_iPKiS5_PT2_S5_iPiS5_S8_21rocsparse_index_base_imNS_24const_host_device_scalarIfEENSA_IdEENSA_IS6_EEb
; %bb.0:
	s_clause 0x2
	s_load_b32 s2, s[0:1], 0x70
	s_load_b64 s[24:25], s[0:1], 0x48
	s_load_b256 s[16:23], s[0:1], 0x50
	s_wait_kmcnt 0x0
	s_bitcmp1_b32 s2, 0
	s_cselect_b32 s4, -1, 0
	s_cmp_eq_u32 s25, 0
	s_cselect_b32 s2, -1, 0
	s_cmp_lg_u32 s25, 0
	s_cselect_b32 s5, -1, 0
	s_or_b32 s7, s2, s4
	s_delay_alu instid0(SALU_CYCLE_1)
	s_xor_b32 s6, s7, -1
	s_and_b32 s2, s2, exec_lo
	s_cselect_b32 s3, 0, s21
	s_cselect_b32 s2, 0, s20
	;; [unrolled: 1-line block ×3, first 2 shown]
	s_and_b32 vcc_lo, exec_lo, s7
	s_cbranch_vccnz .LBB19_2
; %bb.1:
	s_load_b32 s34, s[18:19], 0x0
	s_mov_b64 s[2:3], s[20:21]
.LBB19_2:
	s_delay_alu instid0(SALU_CYCLE_1)
	v_mov_b64_e32 v[2:3], s[2:3]
	s_and_not1_b32 vcc_lo, exec_lo, s6
	s_cbranch_vccnz .LBB19_4
; %bb.3:
	v_mov_b32_e32 v1, 0
	flat_load_b64 v[2:3], v1, s[20:21]
.LBB19_4:
	s_wait_xcnt 0x0
	v_cndmask_b32_e64 v1, 0, 1, s5
	s_mov_b32 s31, 0
	s_and_not1_b32 vcc_lo, exec_lo, s5
	s_mov_b32 s33, s31
	s_cbranch_vccnz .LBB19_10
; %bb.5:
	s_xor_b32 s2, s4, -1
	s_mov_b32 s31, s22
	v_cndmask_b32_e64 v4, 0, 1, s2
	s_and_not1_b32 vcc_lo, exec_lo, s2
	s_cbranch_vccnz .LBB19_7
; %bb.6:
	s_load_b32 s31, s[22:23], 0x0
.LBB19_7:
	s_delay_alu instid0(VALU_DEP_1)
	v_cmp_ne_u32_e32 vcc_lo, 1, v4
	s_cbranch_vccnz .LBB19_9
; %bb.8:
	s_wait_xcnt 0x0
	s_load_b32 s23, s[22:23], 0x4
.LBB19_9:
	s_wait_kmcnt 0x0
	s_mov_b32 s33, s23
.LBB19_10:
	s_load_b128 s[20:23], s[0:1], 0x30
	s_bfe_u32 s2, ttmp6, 0x4000c
	s_and_b32 s3, ttmp6, 15
	s_add_co_i32 s2, s2, 1
	s_getreg_b32 s4, hwreg(HW_REG_IB_STS2, 6, 4)
	s_mul_i32 s2, ttmp9, s2
	s_mov_b32 s7, 0
	s_add_co_i32 s3, s3, s2
	s_cmp_eq_u32 s4, 0
	s_cselect_b32 s2, ttmp9, s3
	s_load_b64 s[18:19], s[0:1], 0x40
	s_wait_kmcnt 0x0
	s_load_b32 s26, s[22:23], s2 offset:0x0 scale_offset
	s_load_b256 s[8:15], s[0:1], 0x8
	s_wait_kmcnt 0x0
	s_ashr_i32 s27, s26, 31
	s_delay_alu instid0(SALU_CYCLE_1) | instskip(NEXT) | instid1(SALU_CYCLE_1)
	s_lshl_b64 s[22:23], s[26:27], 2
	s_add_nc_u64 s[2:3], s[14:15], s[22:23]
	s_load_b32 s30, s[2:3], 0x0
	s_wait_kmcnt 0x0
	s_cmp_eq_u32 s30, -1
	s_cbranch_scc1 .LBB19_104
; %bb.11:
	s_add_nc_u64 s[2:3], s[8:9], s[22:23]
	s_load_b64 s[4:5], s[2:3], 0x0
	s_clause 0x1
	s_load_b64 s[28:29], s[0:1], 0x0
	s_load_b32 s25, s[0:1], 0x28
	s_wait_kmcnt 0x0
	s_sub_co_i32 s35, s4, s24
	s_sub_co_i32 s27, s5, s24
	s_cmp_ge_i32 s35, s30
	s_cbranch_scc1 .LBB19_93
; %bb.12:
	v_and_b32_e32 v22, 0x3ff, v0
	v_bfe_u32 v23, v0, 10, 10
	s_cmp_lg_u32 s28, 0
	s_mov_b32 s36, 0
	s_cselect_b32 s37, -1, 0
	v_mad_u32 v5, s25, s35, v22
	v_lshl_or_b32 v4, v23, 6, v22
	v_dual_mov_b32 v24, 0 :: v_dual_lshlrev_b32 v6, 3, v22
	v_add_nc_u32_e32 v26, 1, v23
	v_cmp_gt_i32_e64 s0, s25, v22
	s_delay_alu instid0(VALU_DEP_4)
	v_add_nc_u32_e32 v4, s35, v4
	v_cmp_le_i32_e64 s1, s25, v22
	v_cmp_gt_i32_e64 s2, s25, v23
	v_cmp_eq_u32_e64 s3, 0, v23
	v_mul_u32_u24_e32 v27, 0x208, v23
	v_mul_lo_u32 v25, s25, v5
	v_ashrrev_i32_e32 v5, 31, v4
	v_mad_u32_u24 v28, 0x208, v23, 0x208
	v_mad_u32_u24 v29, 0x208, v23, v6
	v_cmp_gt_i32_e64 s4, s27, v4
	s_cmp_gt_i32 s25, 0
	v_lshl_add_u64 v[6:7], v[4:5], 2, s[10:11]
	s_cselect_b32 s38, -1, 0
	s_add_co_i32 s29, s29, 1
	s_lshl_b32 s39, s25, 6
	s_mul_i32 s40, s25, s25
	v_add_nc_u32_e32 v5, v26, v25
.LBB19_13:                              ; =>This Loop Header: Depth=1
                                        ;     Child Loop BB19_15 Depth 2
                                        ;     Child Loop BB19_19 Depth 2
                                        ;       Child Loop BB19_22 Depth 3
                                        ;     Child Loop BB19_29 Depth 2
                                        ;       Child Loop BB19_32 Depth 3
                                        ;         Child Loop BB19_43 Depth 4
                                        ;     Child Loop BB19_54 Depth 2
                                        ;       Child Loop BB19_59 Depth 3
                                        ;       Child Loop BB19_68 Depth 3
                                        ;         Child Loop BB19_71 Depth 4
                                        ;       Child Loop BB19_77 Depth 3
                                        ;         Child Loop BB19_80 Depth 4
                                        ;           Child Loop BB19_82 Depth 5
	s_wait_dscnt 0x0
	s_wait_xcnt 0x0
	v_mov_b32_e32 v8, s35
	s_mov_b32 s7, -1
	global_load_b32 v8, v8, s[10:11] scale_offset
	s_wait_loadcnt 0x0
	v_readfirstlane_b32 s5, v8
	s_sub_co_i32 s6, s5, s24
	s_wait_xcnt 0x0
	v_mov_b32_e32 v8, s6
	global_load_b32 v8, v8, s[14:15] scale_offset
	s_wait_loadcnt 0x0
	v_cmp_eq_u32_e32 vcc_lo, -1, v8
	v_readfirstlane_b32 s41, v8
	v_cmp_ne_u32_e64 s5, -1, v8
	s_cbranch_vccnz .LBB19_91
; %bb.14:                               ;   in Loop: Header=BB19_13 Depth=1
	s_ashr_i32 s7, s6, 31
	s_delay_alu instid0(SALU_CYCLE_1) | instskip(NEXT) | instid1(SALU_CYCLE_1)
	s_lshl_b64 s[6:7], s[6:7], 2
	s_add_nc_u64 s[42:43], s[8:9], s[6:7]
	s_add_nc_u64 s[6:7], s[20:21], s[6:7]
	global_load_b32 v8, v24, s[42:43] offset:4
	s_wait_loadcnt 0x0
	s_wait_xcnt 0x0
	v_readfirstlane_b32 s42, v8
.LBB19_15:                              ;   Parent Loop BB19_13 Depth=1
                                        ; =>  This Inner Loop Header: Depth=2
	global_load_b32 v8, v24, s[6:7] scope:SCOPE_DEV
	s_wait_loadcnt 0x0
	v_cmp_eq_u32_e32 vcc_lo, 0, v8
	s_cbranch_vccnz .LBB19_15
; %bb.16:                               ;   in Loop: Header=BB19_13 Depth=1
	s_wait_dscnt 0x0
	global_inv scope:SCOPE_DEV
	s_wait_xcnt 0x0
	s_and_saveexec_b32 s6, s0
	s_cbranch_execz .LBB19_26
; %bb.17:                               ;   in Loop: Header=BB19_13 Depth=1
	s_mul_i32 s7, s41, s25
	s_delay_alu instid0(SALU_CYCLE_1) | instskip(SKIP_2) | instid1(VALU_DEP_2)
	v_dual_mov_b32 v10, v22 :: v_dual_add_nc_u32 v8, s7, v22
	v_mov_b32_e32 v9, v29
	s_mov_b32 s43, 0
	v_mul_lo_u32 v8, s25, v8
	s_branch .LBB19_19
.LBB19_18:                              ;   in Loop: Header=BB19_19 Depth=2
	s_or_b32 exec_lo, exec_lo, s44
	s_delay_alu instid0(VALU_DEP_1) | instskip(SKIP_1) | instid1(VALU_DEP_2)
	v_dual_add_nc_u32 v10, 64, v10 :: v_dual_add_nc_u32 v8, s39, v8
	v_add_nc_u32_e32 v9, 0x200, v9
	v_cmp_le_i32_e32 vcc_lo, s25, v10
	s_or_b32 s43, vcc_lo, s43
	s_delay_alu instid0(SALU_CYCLE_1)
	s_and_not1_b32 exec_lo, exec_lo, s43
	s_cbranch_execz .LBB19_26
.LBB19_19:                              ;   Parent Loop BB19_13 Depth=1
                                        ; =>  This Loop Header: Depth=2
                                        ;       Child Loop BB19_22 Depth 3
	s_and_saveexec_b32 s44, s2
	s_cbranch_execz .LBB19_18
; %bb.20:                               ;   in Loop: Header=BB19_19 Depth=2
	v_dual_mov_b32 v11, v9 :: v_dual_mov_b32 v12, v23
	s_mov_b32 s45, 0
	s_branch .LBB19_22
.LBB19_21:                              ;   in Loop: Header=BB19_22 Depth=3
	global_load_b64 v[14:15], v13, s[12:13] scale_offset
	v_add_nc_u32_e32 v12, 1, v12
	s_delay_alu instid0(VALU_DEP_1)
	v_cmp_le_i32_e32 vcc_lo, s25, v12
	s_or_b32 s45, vcc_lo, s45
	s_wait_loadcnt 0x0
	ds_store_b64 v11, v[14:15]
	v_add_nc_u32_e32 v11, 0x208, v11
	s_wait_xcnt 0x0
	s_and_not1_b32 exec_lo, exec_lo, s45
	s_cbranch_execz .LBB19_18
.LBB19_22:                              ;   Parent Loop BB19_13 Depth=1
                                        ;     Parent Loop BB19_19 Depth=2
                                        ; =>    This Inner Loop Header: Depth=3
	s_and_b32 vcc_lo, exec_lo, s37
	s_cbranch_vccz .LBB19_24
; %bb.23:                               ;   in Loop: Header=BB19_22 Depth=3
	v_add_nc_u32_e32 v13, s7, v12
	s_delay_alu instid0(VALU_DEP_1)
	v_mad_u32 v13, v13, s25, v10
	s_cbranch_execnz .LBB19_21
	s_branch .LBB19_25
.LBB19_24:                              ;   in Loop: Header=BB19_22 Depth=3
                                        ; implicit-def: $vgpr13
.LBB19_25:                              ;   in Loop: Header=BB19_22 Depth=3
	s_delay_alu instid0(VALU_DEP_2)
	v_add_nc_u32_e32 v13, v8, v12
	s_branch .LBB19_21
.LBB19_26:                              ;   in Loop: Header=BB19_13 Depth=1
	s_or_b32 exec_lo, exec_lo, s6
	s_delay_alu instid0(SALU_CYCLE_1)
	s_and_not1_b32 vcc_lo, exec_lo, s38
	s_mul_i32 s7, s35, s25
	s_wait_loadcnt_dscnt 0x0
	s_cbranch_vccnz .LBB19_49
; %bb.27:                               ;   in Loop: Header=BB19_13 Depth=1
	v_dual_mov_b32 v30, v28 :: v_dual_mov_b32 v31, v5
	s_mov_b32 s43, 0
	s_branch .LBB19_29
.LBB19_28:                              ;   in Loop: Header=BB19_29 Depth=2
	s_or_b32 exec_lo, exec_lo, s44
	v_add_nc_u32_e32 v31, 1, v31
	v_add_nc_u32_e32 v30, 0x210, v30
	s_add_co_i32 s43, s43, 1
	s_delay_alu instid0(SALU_CYCLE_1)
	s_cmp_eq_u32 s43, s25
	s_cbranch_scc1 .LBB19_49
.LBB19_29:                              ;   Parent Loop BB19_13 Depth=1
                                        ; =>  This Loop Header: Depth=2
                                        ;       Child Loop BB19_32 Depth 3
                                        ;         Child Loop BB19_43 Depth 4
	s_and_saveexec_b32 s44, s0
	s_cbranch_execz .LBB19_28
; %bb.30:                               ;   in Loop: Header=BB19_29 Depth=2
	s_mul_i32 s6, s43, 0x208
	s_lshl_b32 s45, s43, 3
	v_mov_b32_e32 v34, v22
	s_add_co_i32 s6, s6, s45
	s_add_co_i32 s45, s43, s7
	v_mov_b32_e32 v8, s6
	s_mul_i32 s45, s45, s25
	s_mov_b32 s46, 0
	v_dual_mov_b32 v33, v31 :: v_dual_add_nc_u32 v32, s43, v26
	ds_load_b64 v[8:9], v8
	v_cmp_gt_i32_e64 s6, s25, v32
	s_wait_dscnt 0x0
	v_mul_f32_e32 v10, v9, v9
	s_delay_alu instid0(VALU_DEP_1) | instskip(NEXT) | instid1(VALU_DEP_1)
	v_fmac_f32_e32 v10, v8, v8
	v_div_scale_f32 v11, null, v10, v10, 1.0
	v_div_scale_f32 v14, vcc_lo, 1.0, v10, 1.0
	s_delay_alu instid0(VALU_DEP_2)
	v_rcp_f32_e32 v12, v11
	v_nop
	v_xor_b32_e32 v11, 0x80000000, v11
	s_delay_alu instid0(TRANS32_DEP_1) | instid1(VALU_DEP_1)
	v_fma_f32 v13, v11, v12, 1.0
	s_delay_alu instid0(VALU_DEP_1) | instskip(NEXT) | instid1(VALU_DEP_1)
	v_fmac_f32_e32 v12, v13, v12
	v_mul_f32_e32 v13, v14, v12
	s_delay_alu instid0(VALU_DEP_1) | instskip(NEXT) | instid1(VALU_DEP_1)
	v_fma_f32 v15, v11, v13, v14
	v_fmac_f32_e32 v13, v15, v12
	s_delay_alu instid0(VALU_DEP_1) | instskip(NEXT) | instid1(VALU_DEP_1)
	v_fmac_f32_e32 v14, v11, v13
	v_div_fmas_f32 v11, v14, v12, v13
	v_dual_mov_b32 v12, v8 :: v_dual_mov_b32 v13, v8
	s_delay_alu instid0(VALU_DEP_2) | instskip(NEXT) | instid1(VALU_DEP_1)
	v_div_fixup_f32 v10, v11, v10, 1.0
	v_dual_mov_b32 v8, v9 :: v_dual_mov_b32 v11, v10
	s_branch .LBB19_32
.LBB19_31:                              ;   in Loop: Header=BB19_32 Depth=3
	s_or_b32 exec_lo, exec_lo, s47
	v_dual_add_nc_u32 v34, 64, v34 :: v_dual_add_nc_u32 v33, s39, v33
	s_delay_alu instid0(VALU_DEP_1) | instskip(SKIP_1) | instid1(SALU_CYCLE_1)
	v_cmp_le_i32_e32 vcc_lo, s25, v34
	s_or_b32 s46, vcc_lo, s46
	s_and_not1_b32 exec_lo, exec_lo, s46
	s_cbranch_execz .LBB19_28
.LBB19_32:                              ;   Parent Loop BB19_13 Depth=1
                                        ;     Parent Loop BB19_29 Depth=2
                                        ; =>    This Loop Header: Depth=3
                                        ;         Child Loop BB19_43 Depth 4
	s_and_b32 vcc_lo, exec_lo, s37
	s_cbranch_vccz .LBB19_47
; %bb.33:                               ;   in Loop: Header=BB19_32 Depth=3
	v_add_nc_u32_e32 v14, s45, v34
	s_cbranch_execnz .LBB19_35
.LBB19_34:                              ;   in Loop: Header=BB19_32 Depth=3
	v_add_nc_u32_e32 v14, s7, v34
	s_delay_alu instid0(VALU_DEP_1)
	v_mad_u32 v14, v14, s25, s43
.LBB19_35:                              ;   in Loop: Header=BB19_32 Depth=3
	global_load_b64 v[14:15], v14, s[12:13] scale_offset
	s_wait_loadcnt 0x0
	v_pk_mul_f32 v[16:17], v[8:9], v[14:15] op_sel:[0,1] op_sel_hi:[1,0] neg_hi:[0,1]
	s_wait_xcnt 0x0
	s_delay_alu instid0(VALU_DEP_1) | instskip(NEXT) | instid1(VALU_DEP_1)
	v_pk_fma_f32 v[14:15], v[14:15], v[12:13], v[16:17]
	v_pk_mul_f32 v[14:15], v[10:11], v[14:15]
	s_and_saveexec_b32 s47, s3
	s_cbranch_execz .LBB19_40
; %bb.36:                               ;   in Loop: Header=BB19_32 Depth=3
	s_and_b32 vcc_lo, exec_lo, s37
	s_cbranch_vccz .LBB19_48
; %bb.37:                               ;   in Loop: Header=BB19_32 Depth=3
	v_add_nc_u32_e32 v16, s45, v34
	s_cbranch_execnz .LBB19_39
.LBB19_38:                              ;   in Loop: Header=BB19_32 Depth=3
	v_add_nc_u32_e32 v16, s7, v34
	s_delay_alu instid0(VALU_DEP_1)
	v_mad_u32 v16, v16, s25, s43
.LBB19_39:                              ;   in Loop: Header=BB19_32 Depth=3
	global_store_b64 v16, v[14:15], s[12:13] scale_offset
.LBB19_40:                              ;   in Loop: Header=BB19_32 Depth=3
	s_wait_xcnt 0x0
	s_or_b32 exec_lo, exec_lo, s47
	s_and_saveexec_b32 s47, s6
	s_cbranch_execz .LBB19_31
; %bb.41:                               ;   in Loop: Header=BB19_32 Depth=3
	v_xor_b32_e32 v17, 0x80000000, v14
	v_dual_mov_b32 v16, v15 :: v_dual_mov_b32 v35, v30
	v_dual_mov_b32 v36, v33 :: v_dual_mov_b32 v37, v32
	s_mov_b32 s48, 0
	s_branch .LBB19_43
.LBB19_42:                              ;   in Loop: Header=BB19_43 Depth=4
	v_dual_add_nc_u32 v37, 1, v37 :: v_dual_add_nc_u32 v36, 1, v36
	s_wait_loadcnt_dscnt 0x0
	v_pk_fma_f32 v[20:21], v[14:15], v[18:19], v[20:21] op_sel_hi:[1,0,1] neg_lo:[1,0,0] neg_hi:[1,0,0]
	v_add_nc_u32_e32 v35, 0x208, v35
	s_delay_alu instid0(VALU_DEP_3) | instskip(NEXT) | instid1(VALU_DEP_3)
	v_cmp_le_i32_e32 vcc_lo, s25, v37
	v_pk_fma_f32 v[18:19], v[16:17], v[18:19], v[20:21] op_sel:[0,1,0]
	s_or_b32 s48, vcc_lo, s48
	global_store_b64 v39, v[18:19], s[12:13] scale_offset
	s_wait_xcnt 0x0
	s_and_not1_b32 exec_lo, exec_lo, s48
	s_cbranch_execz .LBB19_31
.LBB19_43:                              ;   Parent Loop BB19_13 Depth=1
                                        ;     Parent Loop BB19_29 Depth=2
                                        ;       Parent Loop BB19_32 Depth=3
                                        ; =>      This Inner Loop Header: Depth=4
	ds_load_b64 v[18:19], v35
	v_dual_mov_b32 v21, v36 :: v_dual_add_nc_u32 v20, s7, v37
	s_and_not1_b32 vcc_lo, exec_lo, s37
	s_delay_alu instid0(VALU_DEP_1)
	v_mad_u32 v38, v20, s25, v34
	s_cbranch_vccnz .LBB19_45
; %bb.44:                               ;   in Loop: Header=BB19_43 Depth=4
	v_mad_u32 v21, v20, s25, v34
.LBB19_45:                              ;   in Loop: Header=BB19_43 Depth=4
	global_load_b64 v[20:21], v21, s[12:13] scale_offset
	v_mov_b32_e32 v39, v36
	s_and_not1_b32 vcc_lo, exec_lo, s37
	s_cbranch_vccnz .LBB19_42
; %bb.46:                               ;   in Loop: Header=BB19_43 Depth=4
	v_mov_b32_e32 v39, v38
	s_branch .LBB19_42
.LBB19_47:                              ;   in Loop: Header=BB19_32 Depth=3
                                        ; implicit-def: $vgpr14
	s_branch .LBB19_34
.LBB19_48:                              ;   in Loop: Header=BB19_32 Depth=3
                                        ; implicit-def: $vgpr16
	s_branch .LBB19_38
.LBB19_49:                              ;   in Loop: Header=BB19_13 Depth=1
	s_sub_co_i32 s6, s42, s24
	s_add_co_i32 s41, s41, 1
	s_wait_storecnt 0x0
	s_cmp_ge_i32 s41, s6
	s_cbranch_scc1 .LBB19_90
; %bb.50:                               ;   in Loop: Header=BB19_13 Depth=1
	v_mad_u32 v8, s25, s41, v22
	s_delay_alu instid0(VALU_DEP_1)
	v_mul_lo_u32 v10, s25, v8
	s_branch .LBB19_54
.LBB19_51:                              ;   in Loop: Header=BB19_54 Depth=2
	s_or_b32 exec_lo, exec_lo, s43
.LBB19_52:                              ;   in Loop: Header=BB19_54 Depth=2
	s_delay_alu instid0(SALU_CYCLE_1)
	s_or_b32 exec_lo, exec_lo, s42
.LBB19_53:                              ;   in Loop: Header=BB19_54 Depth=2
	v_add_nc_u32_e32 v10, s40, v10
	s_add_co_i32 s41, s41, 1
	s_delay_alu instid0(SALU_CYCLE_1)
	s_cmp_lt_i32 s41, s6
	s_cbranch_scc0 .LBB19_90
.LBB19_54:                              ;   Parent Loop BB19_13 Depth=1
                                        ; =>  This Loop Header: Depth=2
                                        ;       Child Loop BB19_59 Depth 3
                                        ;       Child Loop BB19_68 Depth 3
                                        ;         Child Loop BB19_71 Depth 4
                                        ;       Child Loop BB19_77 Depth 3
                                        ;         Child Loop BB19_80 Depth 4
                                        ;           Child Loop BB19_82 Depth 5
	s_wait_dscnt 0x0
	v_dual_mov_b32 v8, s41 :: v_dual_mov_b32 v9, s29
	global_load_b32 v8, v8, s[10:11] scale_offset
	s_wait_xcnt 0x0
	s_and_saveexec_b32 s42, s4
	s_cbranch_execz .LBB19_56
; %bb.55:                               ;   in Loop: Header=BB19_54 Depth=2
	global_load_b32 v9, v[6:7], off
	s_wait_loadcnt 0x0
	v_subrev_nc_u32_e32 v9, s24, v9
.LBB19_56:                              ;   in Loop: Header=BB19_54 Depth=2
	s_wait_xcnt 0x0
	s_or_b32 exec_lo, exec_lo, s42
	s_wait_loadcnt 0x0
	v_subrev_nc_u32_e32 v8, s24, v8
	v_mov_b32_e32 v11, v4
	s_mov_b32 s42, exec_lo
	s_delay_alu instid0(VALU_DEP_2)
	v_cmpx_lt_i32_e64 v9, v8
	s_cbranch_execz .LBB19_62
; %bb.57:                               ;   in Loop: Header=BB19_54 Depth=2
	v_mov_b32_e32 v12, v4
	s_mov_b32 s43, 0
	s_branch .LBB19_59
.LBB19_58:                              ;   in Loop: Header=BB19_59 Depth=3
	s_wait_xcnt 0x0
	s_or_b32 exec_lo, exec_lo, s44
	s_delay_alu instid0(VALU_DEP_1) | instskip(SKIP_2) | instid1(SALU_CYCLE_1)
	v_cmp_ge_i32_e32 vcc_lo, v9, v8
	v_mov_b32_e32 v12, v11
	s_or_b32 s43, vcc_lo, s43
	s_and_not1_b32 exec_lo, exec_lo, s43
	s_cbranch_execz .LBB19_61
.LBB19_59:                              ;   Parent Loop BB19_13 Depth=1
                                        ;     Parent Loop BB19_54 Depth=2
                                        ; =>    This Inner Loop Header: Depth=3
	s_delay_alu instid0(VALU_DEP_1) | instskip(SKIP_1) | instid1(VALU_DEP_1)
	v_dual_add_nc_u32 v11, 64, v12 :: v_dual_mov_b32 v9, s29
	s_mov_b32 s44, exec_lo
	v_cmpx_gt_i32_e64 s27, v11
	s_cbranch_execz .LBB19_58
; %bb.60:                               ;   in Loop: Header=BB19_59 Depth=3
	global_load_b32 v9, v12, s[10:11] offset:256 scale_offset
	s_wait_loadcnt 0x0
	v_subrev_nc_u32_e32 v9, s24, v9
	s_branch .LBB19_58
.LBB19_61:                              ;   in Loop: Header=BB19_54 Depth=2
	s_or_b32 exec_lo, exec_lo, s43
.LBB19_62:                              ;   in Loop: Header=BB19_54 Depth=2
	s_delay_alu instid0(SALU_CYCLE_1)
	s_or_b32 exec_lo, exec_lo, s42
	v_cmp_eq_u32_e32 vcc_lo, v9, v8
	s_cbranch_vccz .LBB19_53
; %bb.63:                               ;   in Loop: Header=BB19_54 Depth=2
	s_ctz_i32_b32 s42, vcc_lo
	s_delay_alu instid0(SALU_CYCLE_1) | instskip(NEXT) | instid1(SALU_CYCLE_1)
	s_lshl_b32 s42, s42, 2
	v_mov_b32_e32 v8, s42
	ds_bpermute_b32 v8, v8, v11
	s_and_saveexec_b32 s42, s1
	s_delay_alu instid0(SALU_CYCLE_1)
	s_xor_b32 s42, exec_lo, s42
	s_cbranch_execz .LBB19_65
; %bb.64:                               ;   in Loop: Header=BB19_54 Depth=2
	s_wait_dscnt 0x0
                                        ; implicit-def: $vgpr8
.LBB19_65:                              ;   in Loop: Header=BB19_54 Depth=2
	s_and_not1_saveexec_b32 s42, s42
	s_cbranch_execz .LBB19_52
; %bb.66:                               ;   in Loop: Header=BB19_54 Depth=2
	v_dual_mov_b32 v9, v29 :: v_dual_mov_b32 v11, v10
	v_mov_b32_e32 v12, v22
	s_mul_i32 s44, s41, s25
	s_mov_b32 s43, 0
	s_branch .LBB19_68
.LBB19_67:                              ;   in Loop: Header=BB19_68 Depth=3
	s_or_b32 exec_lo, exec_lo, s45
	v_dual_add_nc_u32 v12, 64, v12 :: v_dual_add_nc_u32 v11, s39, v11
	v_add_nc_u32_e32 v9, 0x200, v9
	s_delay_alu instid0(VALU_DEP_2) | instskip(SKIP_1) | instid1(SALU_CYCLE_1)
	v_cmp_le_i32_e32 vcc_lo, s25, v12
	s_or_b32 s43, vcc_lo, s43
	s_and_not1_b32 exec_lo, exec_lo, s43
	s_cbranch_execz .LBB19_75
.LBB19_68:                              ;   Parent Loop BB19_13 Depth=1
                                        ;     Parent Loop BB19_54 Depth=2
                                        ; =>    This Loop Header: Depth=3
                                        ;         Child Loop BB19_71 Depth 4
	s_and_saveexec_b32 s45, s2
	s_cbranch_execz .LBB19_67
; %bb.69:                               ;   in Loop: Header=BB19_68 Depth=3
	v_dual_mov_b32 v13, v9 :: v_dual_mov_b32 v14, v23
	s_mov_b32 s46, 0
	s_branch .LBB19_71
.LBB19_70:                              ;   in Loop: Header=BB19_71 Depth=4
	global_load_b64 v[16:17], v15, s[12:13] scale_offset
	v_add_nc_u32_e32 v14, 1, v14
	s_delay_alu instid0(VALU_DEP_1)
	v_cmp_le_i32_e32 vcc_lo, s25, v14
	s_or_b32 s46, vcc_lo, s46
	s_wait_loadcnt 0x0
	ds_store_b64 v13, v[16:17]
	v_add_nc_u32_e32 v13, 0x208, v13
	s_wait_xcnt 0x0
	s_and_not1_b32 exec_lo, exec_lo, s46
	s_cbranch_execz .LBB19_67
.LBB19_71:                              ;   Parent Loop BB19_13 Depth=1
                                        ;     Parent Loop BB19_54 Depth=2
                                        ;       Parent Loop BB19_68 Depth=3
                                        ; =>      This Inner Loop Header: Depth=4
	s_and_b32 vcc_lo, exec_lo, s37
	s_cbranch_vccz .LBB19_73
; %bb.72:                               ;   in Loop: Header=BB19_71 Depth=4
	v_add_nc_u32_e32 v15, s44, v14
	s_delay_alu instid0(VALU_DEP_1)
	v_mad_u32 v15, v15, s25, v12
	s_cbranch_execnz .LBB19_70
	s_branch .LBB19_74
.LBB19_73:                              ;   in Loop: Header=BB19_71 Depth=4
                                        ; implicit-def: $vgpr15
.LBB19_74:                              ;   in Loop: Header=BB19_71 Depth=4
	v_add_nc_u32_e32 v15, v11, v14
	s_branch .LBB19_70
.LBB19_75:                              ;   in Loop: Header=BB19_54 Depth=2
	s_or_b32 exec_lo, exec_lo, s43
	s_wait_dscnt 0x0
	v_mul_lo_u32 v11, v8, s25
	v_dual_mov_b32 v12, v25 :: v_dual_mov_b32 v13, v22
	s_mov_b32 s43, 0
	s_branch .LBB19_77
.LBB19_76:                              ;   in Loop: Header=BB19_77 Depth=3
	s_or_b32 exec_lo, exec_lo, s44
	v_dual_add_nc_u32 v13, 64, v13 :: v_dual_add_nc_u32 v12, s39, v12
	s_delay_alu instid0(VALU_DEP_1) | instskip(SKIP_1) | instid1(SALU_CYCLE_1)
	v_cmp_le_i32_e32 vcc_lo, s25, v13
	s_or_b32 s43, vcc_lo, s43
	s_and_not1_b32 exec_lo, exec_lo, s43
	s_cbranch_execz .LBB19_51
.LBB19_77:                              ;   Parent Loop BB19_13 Depth=1
                                        ;     Parent Loop BB19_54 Depth=2
                                        ; =>    This Loop Header: Depth=3
                                        ;         Child Loop BB19_80 Depth 4
                                        ;           Child Loop BB19_82 Depth 5
	s_and_saveexec_b32 s44, s2
	s_cbranch_execz .LBB19_76
; %bb.78:                               ;   in Loop: Header=BB19_77 Depth=3
	s_delay_alu instid0(VALU_DEP_2) | instskip(SKIP_2) | instid1(VALU_DEP_2)
	v_dual_mov_b32 v15, v27 :: v_dual_add_nc_u32 v8, v13, v11
	v_mov_b32_e32 v16, v23
	s_mov_b32 s45, 0
	v_mul_lo_u32 v14, v8, s25
	s_branch .LBB19_80
.LBB19_79:                              ;   in Loop: Header=BB19_80 Depth=4
	global_load_b64 v[18:19], v17, s[12:13] scale_offset
	v_add_nc_u32_e32 v16, 1, v16
	v_add_nc_u32_e32 v15, 0x208, v15
	s_delay_alu instid0(VALU_DEP_2)
	v_cmp_le_i32_e32 vcc_lo, s25, v16
	s_or_b32 s45, vcc_lo, s45
	s_wait_loadcnt 0x0
	v_pk_add_f32 v[8:9], v[18:19], v[8:9] neg_lo:[0,1] neg_hi:[0,1]
	global_store_b64 v17, v[8:9], s[12:13] scale_offset
	s_wait_xcnt 0x0
	s_and_not1_b32 exec_lo, exec_lo, s45
	s_cbranch_execz .LBB19_76
.LBB19_80:                              ;   Parent Loop BB19_13 Depth=1
                                        ;     Parent Loop BB19_54 Depth=2
                                        ;       Parent Loop BB19_77 Depth=3
                                        ; =>      This Loop Header: Depth=4
                                        ;           Child Loop BB19_82 Depth 5
	v_dual_mov_b32 v8, 0 :: v_dual_mov_b32 v17, v15
	s_mov_b32 s46, 0
	s_delay_alu instid0(VALU_DEP_1)
	v_mov_b32_e32 v9, v8
	s_branch .LBB19_82
.LBB19_81:                              ;   in Loop: Header=BB19_82 Depth=5
	global_load_b64 v[18:19], v18, s[12:13] scale_offset
	ds_load_b64 v[20:21], v17
	v_add_nc_u32_e32 v17, 8, v17
	s_add_co_i32 s46, s46, 1
	s_delay_alu instid0(SALU_CYCLE_1) | instskip(SKIP_2) | instid1(VALU_DEP_1)
	s_cmp_eq_u32 s25, s46
	s_wait_loadcnt_dscnt 0x0
	v_pk_fma_f32 v[8:9], v[18:19], v[20:21], v[8:9] op_sel_hi:[1,0,1]
	v_pk_fma_f32 v[8:9], v[18:19], v[20:21], v[8:9] op_sel:[1,1,0] op_sel_hi:[0,1,1] neg_lo:[1,0,0]
	s_cbranch_scc1 .LBB19_86
.LBB19_82:                              ;   Parent Loop BB19_13 Depth=1
                                        ;     Parent Loop BB19_54 Depth=2
                                        ;       Parent Loop BB19_77 Depth=3
                                        ;         Parent Loop BB19_80 Depth=4
                                        ; =>        This Inner Loop Header: Depth=5
	s_and_b32 vcc_lo, exec_lo, s37
	s_cbranch_vccz .LBB19_84
; %bb.83:                               ;   in Loop: Header=BB19_82 Depth=5
	s_add_co_i32 s47, s46, s7
	s_wait_xcnt 0x0
	v_mad_u32 v18, s47, s25, v13
	s_cbranch_execnz .LBB19_81
	s_branch .LBB19_85
.LBB19_84:                              ;   in Loop: Header=BB19_82 Depth=5
                                        ; implicit-def: $vgpr18
.LBB19_85:                              ;   in Loop: Header=BB19_82 Depth=5
	s_wait_xcnt 0x0
	v_add_nc_u32_e32 v18, s46, v12
	s_branch .LBB19_81
.LBB19_86:                              ;   in Loop: Header=BB19_80 Depth=4
	s_and_b32 vcc_lo, exec_lo, s37
	s_cbranch_vccz .LBB19_88
; %bb.87:                               ;   in Loop: Header=BB19_80 Depth=4
	v_add_nc_u32_e32 v17, v16, v11
	s_delay_alu instid0(VALU_DEP_1)
	v_mad_u32 v17, v17, s25, v13
	s_cbranch_execnz .LBB19_79
	s_branch .LBB19_89
.LBB19_88:                              ;   in Loop: Header=BB19_80 Depth=4
                                        ; implicit-def: $vgpr17
.LBB19_89:                              ;   in Loop: Header=BB19_80 Depth=4
	v_add_nc_u32_e32 v17, v16, v14
	s_branch .LBB19_79
.LBB19_90:                              ;   in Loop: Header=BB19_13 Depth=1
	s_mov_b32 s7, s36
.LBB19_91:                              ;   in Loop: Header=BB19_13 Depth=1
	s_add_co_i32 s35, s35, 1
	v_add_nc_u32_e32 v5, s40, v5
	s_cmp_lt_i32 s35, s30
	v_add_nc_u32_e32 v25, s40, v25
	s_cselect_b32 s6, -1, 0
	s_delay_alu instid0(SALU_CYCLE_1) | instskip(NEXT) | instid1(SALU_CYCLE_1)
	s_and_b32 s5, s5, s6
	s_and_b32 vcc_lo, exec_lo, s5
	s_cbranch_vccz .LBB19_93
; %bb.92:                               ;   in Loop: Header=BB19_13 Depth=1
	s_mov_b32 s36, s7
	s_branch .LBB19_13
.LBB19_93:
	v_mov_b32_e32 v4, s30
	s_wait_storecnt 0x0
	s_wait_loadcnt_dscnt 0x0
	global_load_b32 v4, v4, s[10:11] scale_offset
	s_wait_loadcnt 0x0
	s_wait_xcnt 0x0
	v_subrev_nc_u32_e32 v4, s24, v4
	s_delay_alu instid0(VALU_DEP_1)
	v_cmp_ne_u32_e32 vcc_lo, s26, v4
	s_cbranch_vccnz .LBB19_143
; %bb.94:
	v_and_b32_e32 v14, 0x3ff, v0
	s_delay_alu instid0(VALU_DEP_1)
	v_cmp_gt_i32_e64 s0, s25, v14
	v_lshlrev_b32_e32 v15, 3, v14
	s_and_saveexec_b32 s2, s0
	s_cbranch_execz .LBB19_105
; %bb.95:
	s_mul_i32 s3, s30, s25
	v_bfe_u32 v4, v0, 10, 10
	v_dual_add_nc_u32 v5, s3, v14 :: v_dual_mov_b32 v7, v14
	s_cmp_lg_u32 s28, 0
	s_mov_b32 s4, 0
	s_delay_alu instid0(VALU_DEP_2) | instskip(NEXT) | instid1(VALU_DEP_2)
	v_cmp_gt_u32_e64 s1, s25, v4
	v_mul_lo_u32 v5, s25, v5
	v_mad_u32_u24 v6, 0x208, v4, v15
	s_cselect_b32 s5, -1, 0
	s_lshl_b32 s6, s25, 6
	s_branch .LBB19_97
.LBB19_96:                              ;   in Loop: Header=BB19_97 Depth=1
	s_or_b32 exec_lo, exec_lo, s8
	s_delay_alu instid0(VALU_DEP_2) | instskip(SKIP_1) | instid1(VALU_DEP_2)
	v_dual_add_nc_u32 v7, 64, v7 :: v_dual_add_nc_u32 v5, s6, v5
	v_add_nc_u32_e32 v6, 0x200, v6
	v_cmp_le_i32_e32 vcc_lo, s25, v7
	s_or_b32 s4, vcc_lo, s4
	s_delay_alu instid0(SALU_CYCLE_1)
	s_and_not1_b32 exec_lo, exec_lo, s4
	s_cbranch_execz .LBB19_105
.LBB19_97:                              ; =>This Loop Header: Depth=1
                                        ;     Child Loop BB19_100 Depth 2
	s_and_saveexec_b32 s8, s1
	s_cbranch_execz .LBB19_96
; %bb.98:                               ;   in Loop: Header=BB19_97 Depth=1
	v_dual_mov_b32 v8, v6 :: v_dual_mov_b32 v9, v4
	s_mov_b32 s9, 0
	s_branch .LBB19_100
.LBB19_99:                              ;   in Loop: Header=BB19_100 Depth=2
	global_load_b64 v[10:11], v10, s[12:13] scale_offset
	v_add_nc_u32_e32 v9, 1, v9
	s_delay_alu instid0(VALU_DEP_1)
	v_cmp_le_i32_e32 vcc_lo, s25, v9
	s_or_b32 s9, vcc_lo, s9
	s_wait_loadcnt 0x0
	ds_store_b64 v8, v[10:11]
	v_add_nc_u32_e32 v8, 0x208, v8
	s_wait_xcnt 0x0
	s_and_not1_b32 exec_lo, exec_lo, s9
	s_cbranch_execz .LBB19_96
.LBB19_100:                             ;   Parent Loop BB19_97 Depth=1
                                        ; =>  This Inner Loop Header: Depth=2
	s_and_b32 vcc_lo, exec_lo, s5
	s_cbranch_vccz .LBB19_102
; %bb.101:                              ;   in Loop: Header=BB19_100 Depth=2
	v_add_nc_u32_e32 v10, s3, v9
	s_delay_alu instid0(VALU_DEP_1)
	v_mad_u32 v10, v10, s25, v7
	s_cbranch_execnz .LBB19_99
	s_branch .LBB19_103
.LBB19_102:                             ;   in Loop: Header=BB19_100 Depth=2
                                        ; implicit-def: $vgpr10
.LBB19_103:                             ;   in Loop: Header=BB19_100 Depth=2
	v_add_nc_u32_e32 v10, v5, v9
	s_branch .LBB19_99
.LBB19_104:
	s_mov_b32 s7, -1
	s_branch .LBB19_178
.LBB19_105:
	s_or_b32 exec_lo, exec_lo, s2
	s_cmp_lt_i32 s25, 1
	s_wait_dscnt 0x0
	s_cbranch_scc1 .LBB19_132
; %bb.106:
	v_cvt_f64_f32_e32 v[4:5], s34
	v_bfe_u32 v16, v0, 10, 10
	s_cmp_eq_u64 s[16:17], 8
	s_mov_b32 s6, 0
	s_cselect_b32 vcc_lo, -1, 0
	s_delay_alu instid0(VALU_DEP_1) | instskip(SKIP_3) | instid1(VALU_DEP_3)
	v_or_b32_e32 v6, v14, v16
	v_mul_u32_u24_e32 v7, 0x208, v16
	v_cmp_eq_u32_e64 s1, 0, v16
	v_mad_u32_u24 v18, 0x208, v16, 0x208
	v_add3_u32 v17, v7, v15, 0x210
	v_cndmask_b32_e32 v3, v5, v3, vcc_lo
	v_cmp_eq_u32_e64 s2, 0, v6
	v_cndmask_b32_e32 v2, v4, v2, vcc_lo
.LBB19_107:                             ; =>This Loop Header: Depth=1
                                        ;     Child Loop BB19_124 Depth 2
                                        ;       Child Loop BB19_128 Depth 3
	s_mul_i32 s8, s6, 0x208
	s_lshl_b32 s3, s6, 3
	v_cmp_ne_u32_e32 vcc_lo, 1, v1
	s_add_co_i32 s3, s8, s3
	s_mov_b32 s9, 0
	v_mov_b32_e32 v4, s3
	s_mov_b32 s10, -1
	s_and_b32 vcc_lo, exec_lo, vcc_lo
	ds_load_b64 v[6:7], v4
                                        ; implicit-def: $vgpr4_vgpr5
	s_wait_dscnt 0x0
	v_readfirstlane_b32 s4, v7
	v_readfirstlane_b32 s5, v6
	s_cbranch_vccz .LBB19_112
; %bb.108:                              ;   in Loop: Header=BB19_107 Depth=1
	s_and_b32 vcc_lo, exec_lo, s10
	s_mov_b32 s3, 0
	s_cbranch_vccnz .LBB19_120
.LBB19_109:                             ;   in Loop: Header=BB19_107 Depth=1
	s_and_not1_b32 vcc_lo, exec_lo, s9
                                        ; implicit-def: $sgpr4
	s_cbranch_vccz .LBB19_121
.LBB19_110:                             ;   in Loop: Header=BB19_107 Depth=1
	s_and_not1_b32 vcc_lo, exec_lo, s3
	s_cbranch_vccz .LBB19_130
.LBB19_111:                             ;   in Loop: Header=BB19_107 Depth=1
	v_add_nc_u32_e32 v17, 0x210, v17
	v_add_nc_u32_e32 v18, 0x210, v18
	s_cmp_eq_u32 s4, s25
	s_cbranch_scc0 .LBB19_131
	s_branch .LBB19_132
.LBB19_112:                             ;   in Loop: Header=BB19_107 Depth=1
	s_xor_b32 s9, s5, 0x80000000
	s_cmp_lt_f32 s5, 0
	s_mov_b32 s11, -1
                                        ; implicit-def: $sgpr14
	s_cselect_b32 s9, s9, s5
	s_xor_b32 s10, s4, 0x80000000
	s_cmp_lt_f32 s4, 0
	s_cselect_b32 s10, s10, s4
	s_delay_alu instid0(SALU_CYCLE_1)
	s_cmp_ngt_f32 s9, s10
	s_cbranch_scc0 .LBB19_115
; %bb.113:                              ;   in Loop: Header=BB19_107 Depth=1
	s_cmp_eq_f32 s4, 0
	s_mov_b32 s11, 0
	s_mov_b32 s14, 0
	s_cbranch_scc1 .LBB19_115
; %bb.114:                              ;   in Loop: Header=BB19_107 Depth=1
	v_div_scale_f32 v4, null, s10, s10, s9
	v_div_scale_f32 v9, vcc_lo, s9, s10, s9
	s_delay_alu instid0(VALU_DEP_2)
	v_rcp_f32_e32 v5, v4
	v_nop
	v_xor_b32_e32 v4, 0x80000000, v4
	s_delay_alu instid0(TRANS32_DEP_1) | instid1(VALU_DEP_1)
	v_fma_f32 v8, v4, v5, 1.0
	s_delay_alu instid0(VALU_DEP_1) | instskip(NEXT) | instid1(VALU_DEP_1)
	v_fmac_f32_e32 v5, v8, v5
	v_mul_f32_e32 v8, v9, v5
	s_delay_alu instid0(VALU_DEP_1) | instskip(NEXT) | instid1(VALU_DEP_1)
	v_fma_f32 v10, v4, v8, v9
	v_fmac_f32_e32 v8, v10, v5
	s_delay_alu instid0(VALU_DEP_1) | instskip(NEXT) | instid1(VALU_DEP_1)
	v_fmac_f32_e32 v9, v4, v8
	v_div_fmas_f32 v4, v9, v5, v8
	s_delay_alu instid0(VALU_DEP_1) | instskip(NEXT) | instid1(VALU_DEP_1)
	v_div_fixup_f32 v4, v4, s10, s9
	v_readfirstlane_b32 s14, v4
	s_fmaak_f32 s14, s14, s14, 0x3f800000
	s_delay_alu instid0(SALU_CYCLE_3) | instskip(SKIP_1) | instid1(SALU_CYCLE_2)
	s_mul_f32 s15, s14, 0x4f800000
	s_cmp_lt_f32 s14, 0xf800000
	s_cselect_b32 s15, s15, s14
	s_delay_alu instid0(SALU_CYCLE_1) | instskip(SKIP_1) | instid1(TRANS32_DEP_1)
	v_s_sqrt_f32 s16, s15
	s_mov_b32 s29, s15
	s_add_co_i32 s17, s16, -1
	s_delay_alu instid0(SALU_CYCLE_1) | instskip(NEXT) | instid1(SALU_CYCLE_1)
	s_xor_b32 s34, s17, 0x80000000
	s_fmac_f32 s29, s34, s16
	s_mov_b32 s34, s15
	s_delay_alu instid0(SALU_CYCLE_2) | instskip(SKIP_2) | instid1(SALU_CYCLE_1)
	s_cmp_le_f32 s29, 0
	s_cselect_b32 s17, s17, s16
	s_add_co_i32 s29, s16, 1
	s_xor_b32 s35, s29, 0x80000000
	s_delay_alu instid0(SALU_CYCLE_1) | instskip(NEXT) | instid1(SALU_CYCLE_3)
	s_fmac_f32 s34, s35, s16
	s_cmp_gt_f32 s34, 0
	s_cselect_b32 s16, s29, s17
	s_cmp_lt_f32 s14, 0xf800000
	s_mul_f32 s14, s16, 0x37800000
	v_cmp_class_f32_e64 s17, s15, 0x260
	s_delay_alu instid0(SALU_CYCLE_2) | instskip(SKIP_2) | instid1(SALU_CYCLE_1)
	s_cselect_b32 s14, s14, s16
	s_and_b32 s16, s17, exec_lo
	s_cselect_b32 s14, s15, s14
	s_mul_f32 s14, s10, s14
.LBB19_115:                             ;   in Loop: Header=BB19_107 Depth=1
	s_and_not1_b32 vcc_lo, exec_lo, s11
	s_cbranch_vccnz .LBB19_117
; %bb.116:                              ;   in Loop: Header=BB19_107 Depth=1
	v_div_scale_f32 v4, null, s9, s9, s10
	v_div_scale_f32 v9, vcc_lo, s10, s9, s10
	s_delay_alu instid0(VALU_DEP_2)
	v_rcp_f32_e32 v5, v4
	v_nop
	v_xor_b32_e32 v4, 0x80000000, v4
	s_delay_alu instid0(TRANS32_DEP_1) | instid1(VALU_DEP_1)
	v_fma_f32 v8, v4, v5, 1.0
	s_delay_alu instid0(VALU_DEP_1) | instskip(NEXT) | instid1(VALU_DEP_1)
	v_fmac_f32_e32 v5, v8, v5
	v_mul_f32_e32 v8, v9, v5
	s_delay_alu instid0(VALU_DEP_1) | instskip(NEXT) | instid1(VALU_DEP_1)
	v_fma_f32 v10, v4, v8, v9
	v_fmac_f32_e32 v8, v10, v5
	s_delay_alu instid0(VALU_DEP_1) | instskip(NEXT) | instid1(VALU_DEP_1)
	v_fmac_f32_e32 v9, v4, v8
	v_div_fmas_f32 v4, v9, v5, v8
	s_delay_alu instid0(VALU_DEP_1) | instskip(NEXT) | instid1(VALU_DEP_1)
	v_div_fixup_f32 v4, v4, s9, s10
	v_readfirstlane_b32 s10, v4
	s_fmaak_f32 s10, s10, s10, 0x3f800000
	s_delay_alu instid0(SALU_CYCLE_3) | instskip(SKIP_1) | instid1(SALU_CYCLE_2)
	s_mul_f32 s11, s10, 0x4f800000
	s_cmp_lt_f32 s10, 0xf800000
	s_cselect_b32 s11, s11, s10
	s_delay_alu instid0(SALU_CYCLE_1) | instskip(SKIP_1) | instid1(TRANS32_DEP_1)
	v_s_sqrt_f32 s14, s11
	s_mov_b32 s16, s11
	s_add_co_i32 s15, s14, -1
	s_delay_alu instid0(SALU_CYCLE_1) | instskip(NEXT) | instid1(SALU_CYCLE_1)
	s_xor_b32 s17, s15, 0x80000000
	s_fmac_f32 s16, s17, s14
	s_mov_b32 s17, s11
	s_delay_alu instid0(SALU_CYCLE_2) | instskip(SKIP_2) | instid1(SALU_CYCLE_1)
	s_cmp_le_f32 s16, 0
	s_cselect_b32 s15, s15, s14
	s_add_co_i32 s16, s14, 1
	s_xor_b32 s29, s16, 0x80000000
	s_delay_alu instid0(SALU_CYCLE_1) | instskip(NEXT) | instid1(SALU_CYCLE_3)
	s_fmac_f32 s17, s29, s14
	s_cmp_gt_f32 s17, 0
	s_cselect_b32 s14, s16, s15
	s_cmp_lt_f32 s10, 0xf800000
	s_mul_f32 s10, s14, 0x37800000
	v_cmp_class_f32_e64 s15, s11, 0x260
	s_delay_alu instid0(SALU_CYCLE_2) | instskip(SKIP_2) | instid1(SALU_CYCLE_1)
	s_cselect_b32 s10, s10, s14
	s_and_b32 s14, s15, exec_lo
	s_cselect_b32 s10, s11, s10
	s_mul_f32 s14, s9, s10
.LBB19_117:                             ;   in Loop: Header=BB19_107 Depth=1
	s_delay_alu instid0(SALU_CYCLE_3) | instskip(NEXT) | instid1(VALU_DEP_1)
	v_cvt_f64_f32_e32 v[4:5], s14
	v_cmp_ge_f64_e32 vcc_lo, v[2:3], v[4:5]
	v_cndmask_b32_e64 v4, v7, s33, vcc_lo
	v_cndmask_b32_e64 v5, v6, s31, vcc_lo
	s_and_saveexec_b32 s9, s2
; %bb.118:                              ;   in Loop: Header=BB19_107 Depth=1
	s_delay_alu instid0(VALU_DEP_1)
	v_dual_mov_b32 v6, v5 :: v_dual_mov_b32 v7, v4
	v_mov_b32_e32 v8, s3
	ds_store_b64 v8, v[6:7]
; %bb.119:                              ;   in Loop: Header=BB19_107 Depth=1
	s_or_b32 exec_lo, exec_lo, s9
	s_mov_b32 s9, -1
	s_mov_b32 s3, 0
	s_branch .LBB19_109
.LBB19_120:                             ;   in Loop: Header=BB19_107 Depth=1
	s_or_b32 s3, s5, s4
	v_mov_b64_e32 v[4:5], s[4:5]
	s_bitset0_b32 s3, 31
	s_delay_alu instid0(SALU_CYCLE_1) | instskip(SKIP_2) | instid1(SALU_CYCLE_1)
	s_cmp_lg_u32 s3, 0
	s_mov_b32 s3, -1
	s_cselect_b32 s9, -1, 0
	s_and_not1_b32 vcc_lo, exec_lo, s9
                                        ; implicit-def: $sgpr4
	s_cbranch_vccnz .LBB19_110
.LBB19_121:                             ;   in Loop: Header=BB19_107 Depth=1
	s_add_co_i32 s4, s6, 1
	s_mov_b32 s5, exec_lo
	v_add_nc_u32_e32 v19, s4, v14
	s_delay_alu instid0(VALU_DEP_1)
	v_cmpx_gt_i32_e64 s25, v19
	s_cbranch_execz .LBB19_129
; %bb.122:                              ;   in Loop: Header=BB19_107 Depth=1
	v_mul_f32_e32 v6, v4, v4
	v_dual_mov_b32 v21, v17 :: v_dual_add_nc_u32 v20, s4, v16
	s_mov_b32 s9, 0
	s_delay_alu instid0(VALU_DEP_2) | instskip(NEXT) | instid1(VALU_DEP_1)
	v_fmac_f32_e32 v6, v5, v5
	v_div_scale_f32 v7, null, v6, v6, 1.0
	v_div_scale_f32 v10, vcc_lo, 1.0, v6, 1.0
	s_delay_alu instid0(VALU_DEP_2) | instskip(SKIP_1) | instid1(TRANS32_DEP_1)
	v_rcp_f32_e32 v8, v7
	v_nop
	v_fma_f32 v9, -v7, v8, 1.0
	s_delay_alu instid0(VALU_DEP_1) | instskip(NEXT) | instid1(VALU_DEP_1)
	v_fmac_f32_e32 v8, v9, v8
	v_mul_f32_e32 v9, v10, v8
	s_delay_alu instid0(VALU_DEP_1) | instskip(NEXT) | instid1(VALU_DEP_1)
	v_fma_f32 v11, -v7, v9, v10
	v_fmac_f32_e32 v9, v11, v8
	s_delay_alu instid0(VALU_DEP_1) | instskip(NEXT) | instid1(VALU_DEP_1)
	v_fma_f32 v7, -v7, v9, v10
	v_div_fmas_f32 v7, v7, v8, v9
	v_dual_mov_b32 v8, v4 :: v_dual_mov_b32 v9, v4
	v_cmp_gt_i32_e32 vcc_lo, s25, v20
	s_delay_alu instid0(VALU_DEP_3) | instskip(NEXT) | instid1(VALU_DEP_1)
	v_div_fixup_f32 v6, v7, v6, 1.0
	v_dual_mov_b32 v4, v5 :: v_dual_mov_b32 v7, v6
	s_branch .LBB19_124
.LBB19_123:                             ;   in Loop: Header=BB19_124 Depth=2
	s_or_b32 exec_lo, exec_lo, s10
	v_add_nc_u32_e32 v19, 64, v19
	v_add_nc_u32_e32 v21, 0x200, v21
	s_delay_alu instid0(VALU_DEP_2) | instskip(SKIP_1) | instid1(SALU_CYCLE_1)
	v_cmp_le_i32_e64 s3, s25, v19
	s_or_b32 s9, s3, s9
	s_and_not1_b32 exec_lo, exec_lo, s9
	s_cbranch_execz .LBB19_129
.LBB19_124:                             ;   Parent Loop BB19_107 Depth=1
                                        ; =>  This Loop Header: Depth=2
                                        ;       Child Loop BB19_128 Depth 3
	v_lshl_add_u32 v12, v19, 3, s8
	ds_load_b64 v[10:11], v12
	s_wait_dscnt 0x0
	v_pk_mul_f32 v[22:23], v[8:9], v[10:11] op_sel:[0,1] op_sel_hi:[1,0] neg_hi:[0,1]
	s_delay_alu instid0(VALU_DEP_1) | instskip(NEXT) | instid1(VALU_DEP_1)
	v_pk_fma_f32 v[10:11], v[10:11], v[4:5], v[22:23]
	v_pk_mul_f32 v[10:11], v[6:7], v[10:11]
	s_and_saveexec_b32 s3, s1
; %bb.125:                              ;   in Loop: Header=BB19_124 Depth=2
	ds_store_b64 v12, v[10:11]
; %bb.126:                              ;   in Loop: Header=BB19_124 Depth=2
	s_or_b32 exec_lo, exec_lo, s3
	s_and_saveexec_b32 s10, vcc_lo
	s_cbranch_execz .LBB19_123
; %bb.127:                              ;   in Loop: Header=BB19_124 Depth=2
	v_xor_b32_e32 v13, 0x80000000, v10
	v_dual_mov_b32 v12, v11 :: v_dual_mov_b32 v22, v18
	v_dual_mov_b32 v23, v21 :: v_dual_mov_b32 v24, v20
	s_mov_b32 s11, 0
.LBB19_128:                             ;   Parent Loop BB19_107 Depth=1
                                        ;     Parent Loop BB19_124 Depth=2
                                        ; =>    This Inner Loop Header: Depth=3
	ds_load_b64 v[26:27], v22
	ds_load_b64 v[28:29], v23
	v_add_nc_u32_e32 v24, 1, v24
	v_add_nc_u32_e32 v22, 0x208, v22
	s_delay_alu instid0(VALU_DEP_2) | instskip(SKIP_3) | instid1(VALU_DEP_1)
	v_cmp_le_i32_e64 s3, s25, v24
	s_or_b32 s11, s3, s11
	s_wait_dscnt 0x0
	v_pk_fma_f32 v[28:29], v[10:11], v[26:27], v[28:29] op_sel_hi:[1,0,1] neg_lo:[1,0,0] neg_hi:[1,0,0]
	v_pk_fma_f32 v[26:27], v[12:13], v[26:27], v[28:29] op_sel:[0,1,0]
	ds_store_b64 v23, v[26:27]
	v_add_nc_u32_e32 v23, 0x208, v23
	s_and_not1_b32 exec_lo, exec_lo, s11
	s_cbranch_execnz .LBB19_128
	s_branch .LBB19_123
.LBB19_129:                             ;   in Loop: Header=BB19_107 Depth=1
	s_or_b32 exec_lo, exec_lo, s5
	s_cbranch_execnz .LBB19_111
.LBB19_130:                             ;   in Loop: Header=BB19_107 Depth=1
	s_add_co_i32 s4, s6, 1
	s_mov_b32 s7, -1
	v_add_nc_u32_e32 v17, 0x210, v17
	v_add_nc_u32_e32 v18, 0x210, v18
	s_cmp_eq_u32 s4, s25
	s_cbranch_scc1 .LBB19_132
.LBB19_131:                             ;   in Loop: Header=BB19_107 Depth=1
	s_mov_b32 s6, s4
	s_branch .LBB19_107
.LBB19_132:
	s_wait_dscnt 0x0
	s_and_saveexec_b32 s1, s0
	s_cbranch_execz .LBB19_142
; %bb.133:
	s_mul_i32 s2, s30, s25
	v_bfe_u32 v1, v0, 10, 10
	v_add_nc_u32_e32 v2, s2, v14
	s_cmp_lg_u32 s28, 0
	s_mov_b32 s3, 0
	s_cselect_b32 s4, -1, 0
	v_cmp_gt_u32_e64 s0, s25, v1
	v_mul_lo_u32 v2, s25, v2
	v_mad_u32_u24 v3, 0x208, v1, v15
	s_lshl_b32 s5, s25, 6
	s_branch .LBB19_135
.LBB19_134:                             ;   in Loop: Header=BB19_135 Depth=1
	s_or_b32 exec_lo, exec_lo, s6
	v_add_nc_u32_e32 v14, 64, v14
	s_delay_alu instid0(VALU_DEP_3) | instskip(SKIP_1) | instid1(VALU_DEP_3)
	v_add_nc_u32_e32 v2, s5, v2
	v_add_nc_u32_e32 v3, 0x200, v3
	v_cmp_le_i32_e32 vcc_lo, s25, v14
	s_or_b32 s3, vcc_lo, s3
	s_delay_alu instid0(SALU_CYCLE_1)
	s_and_not1_b32 exec_lo, exec_lo, s3
	s_cbranch_execz .LBB19_142
.LBB19_135:                             ; =>This Loop Header: Depth=1
                                        ;     Child Loop BB19_138 Depth 2
	s_and_saveexec_b32 s6, s0
	s_cbranch_execz .LBB19_134
; %bb.136:                              ;   in Loop: Header=BB19_135 Depth=1
	v_dual_mov_b32 v4, v3 :: v_dual_mov_b32 v5, v1
	s_mov_b32 s8, 0
	s_branch .LBB19_138
.LBB19_137:                             ;   in Loop: Header=BB19_138 Depth=2
	ds_load_b64 v[8:9], v4
	v_add_nc_u32_e32 v5, 1, v5
	v_add_nc_u32_e32 v4, 0x208, v4
	s_delay_alu instid0(VALU_DEP_2)
	v_cmp_le_i32_e32 vcc_lo, s25, v5
	s_or_b32 s8, vcc_lo, s8
	s_wait_dscnt 0x0
	global_store_b64 v6, v[8:9], s[12:13] scale_offset
	s_wait_xcnt 0x0
	s_and_not1_b32 exec_lo, exec_lo, s8
	s_cbranch_execz .LBB19_134
.LBB19_138:                             ;   Parent Loop BB19_135 Depth=1
                                        ; =>  This Inner Loop Header: Depth=2
	s_and_b32 vcc_lo, exec_lo, s4
	s_cbranch_vccz .LBB19_140
; %bb.139:                              ;   in Loop: Header=BB19_138 Depth=2
	v_add_nc_u32_e32 v6, s2, v5
	s_delay_alu instid0(VALU_DEP_1)
	v_mad_u32 v6, v6, s25, v14
	s_cbranch_execnz .LBB19_137
	s_branch .LBB19_141
.LBB19_140:                             ;   in Loop: Header=BB19_138 Depth=2
                                        ; implicit-def: $vgpr6
.LBB19_141:                             ;   in Loop: Header=BB19_138 Depth=2
	v_add_nc_u32_e32 v6, v2, v5
	s_branch .LBB19_137
.LBB19_142:
	s_or_b32 exec_lo, exec_lo, s1
.LBB19_143:
	s_add_co_i32 s3, s30, 1
	s_delay_alu instid0(SALU_CYCLE_1)
	s_cmp_ge_i32 s3, s27
	s_cbranch_scc1 .LBB19_178
; %bb.144:
	v_and_b32_e32 v1, 0x3ff, v0
	v_bfe_u32 v2, v0, 10, 10
	s_mul_i32 s30, s30, s25
	s_cmp_lg_u32 s28, 0
	s_mul_i32 s6, s25, s25
	v_mad_u32 v3, s25, s3, v1
	v_dual_add_nc_u32 v4, s30, v2 :: v_dual_lshlrev_b32 v6, 3, v1
	v_mul_u32_u24_e32 v7, 0x208, v1
	v_dual_lshlrev_b32 v8, 3, v2 :: v_dual_add_nc_u32 v5, 1, v2
	s_cselect_b32 s4, -1, 0
	s_cmp_gt_i32 s25, 0
	v_cmp_gt_i32_e64 s0, s25, v1
	v_cmp_gt_i32_e64 s1, s25, v2
	v_mad_u32 v4, s25, v4, s25
	v_mul_lo_u32 v3, s25, v3
	v_mad_u32_u24 v6, 0x208, v2, v6
	v_add3_u32 v7, v7, v8, 8
	s_cselect_b32 s5, -1, 0
	s_lshl_b32 s8, s25, 6
	s_add_co_i32 s9, s25, 1
.LBB19_145:                             ; =>This Loop Header: Depth=1
                                        ;     Child Loop BB19_148 Depth 2
                                        ;       Child Loop BB19_151 Depth 3
                                        ;     Child Loop BB19_158 Depth 2
                                        ;       Child Loop BB19_161 Depth 3
                                        ;         Child Loop BB19_164 Depth 4
                                        ;     Child Loop BB19_169 Depth 2
                                        ;       Child Loop BB19_172 Depth 3
	s_mul_i32 s10, s3, s25
	s_wait_storecnt 0x0
	s_and_saveexec_b32 s2, s0
	s_cbranch_execz .LBB19_155
; %bb.146:                              ;   in Loop: Header=BB19_145 Depth=1
	s_delay_alu instid0(VALU_DEP_1)
	v_dual_mov_b32 v8, v6 :: v_dual_mov_b32 v9, v3
	v_mov_b32_e32 v10, v1
	s_mov_b32 s11, 0
	s_branch .LBB19_148
.LBB19_147:                             ;   in Loop: Header=BB19_148 Depth=2
	s_or_b32 exec_lo, exec_lo, s14
	v_dual_add_nc_u32 v10, 64, v10 :: v_dual_add_nc_u32 v9, s8, v9
	v_add_nc_u32_e32 v8, 0x200, v8
	s_delay_alu instid0(VALU_DEP_2) | instskip(SKIP_1) | instid1(SALU_CYCLE_1)
	v_cmp_le_i32_e32 vcc_lo, s25, v10
	s_or_b32 s11, vcc_lo, s11
	s_and_not1_b32 exec_lo, exec_lo, s11
	s_cbranch_execz .LBB19_155
.LBB19_148:                             ;   Parent Loop BB19_145 Depth=1
                                        ; =>  This Loop Header: Depth=2
                                        ;       Child Loop BB19_151 Depth 3
	s_and_saveexec_b32 s14, s1
	s_cbranch_execz .LBB19_147
; %bb.149:                              ;   in Loop: Header=BB19_148 Depth=2
	v_dual_mov_b32 v11, v8 :: v_dual_mov_b32 v12, v2
	s_mov_b32 s15, 0
	s_branch .LBB19_151
.LBB19_150:                             ;   in Loop: Header=BB19_151 Depth=3
	global_load_b64 v[14:15], v13, s[12:13] scale_offset
	v_add_nc_u32_e32 v12, 1, v12
	s_delay_alu instid0(VALU_DEP_1)
	v_cmp_le_i32_e32 vcc_lo, s25, v12
	s_or_b32 s15, vcc_lo, s15
	s_wait_loadcnt 0x0
	ds_store_b64 v11, v[14:15]
	v_add_nc_u32_e32 v11, 0x208, v11
	s_wait_xcnt 0x0
	s_and_not1_b32 exec_lo, exec_lo, s15
	s_cbranch_execz .LBB19_147
.LBB19_151:                             ;   Parent Loop BB19_145 Depth=1
                                        ;     Parent Loop BB19_148 Depth=2
                                        ; =>    This Inner Loop Header: Depth=3
	s_and_b32 vcc_lo, exec_lo, s4
	s_cbranch_vccz .LBB19_153
; %bb.152:                              ;   in Loop: Header=BB19_151 Depth=3
	v_add_nc_u32_e32 v13, s10, v12
	s_delay_alu instid0(VALU_DEP_1)
	v_mad_u32 v13, v13, s25, v10
	s_cbranch_execnz .LBB19_150
	s_branch .LBB19_154
.LBB19_153:                             ;   in Loop: Header=BB19_151 Depth=3
                                        ; implicit-def: $vgpr13
.LBB19_154:                             ;   in Loop: Header=BB19_151 Depth=3
	v_add_nc_u32_e32 v13, v9, v12
	s_branch .LBB19_150
.LBB19_155:                             ;   in Loop: Header=BB19_145 Depth=1
	s_or_b32 exec_lo, exec_lo, s2
	s_delay_alu instid0(SALU_CYCLE_1)
	s_and_not1_b32 vcc_lo, exec_lo, s5
	s_wait_dscnt 0x0
	s_cbranch_vccnz .LBB19_166
; %bb.156:                              ;   in Loop: Header=BB19_145 Depth=1
	v_dual_mov_b32 v8, v7 :: v_dual_mov_b32 v9, v4
	s_mov_b32 s11, 0
	s_branch .LBB19_158
.LBB19_157:                             ;   in Loop: Header=BB19_158 Depth=2
	s_or_b32 exec_lo, exec_lo, s14
	v_dual_add_nc_u32 v9, s9, v9 :: v_dual_add_nc_u32 v8, 8, v8
	s_add_co_i32 s11, s11, 1
	s_delay_alu instid0(SALU_CYCLE_1)
	s_cmp_eq_u32 s11, s25
	s_cbranch_scc1 .LBB19_166
.LBB19_158:                             ;   Parent Loop BB19_145 Depth=1
                                        ; =>  This Loop Header: Depth=2
                                        ;       Child Loop BB19_161 Depth 3
                                        ;         Child Loop BB19_164 Depth 4
	s_and_saveexec_b32 s14, s0
	s_cbranch_execz .LBB19_157
; %bb.159:                              ;   in Loop: Header=BB19_158 Depth=2
	v_dual_mov_b32 v11, v8 :: v_dual_add_nc_u32 v10, s11, v5
	v_mov_b32_e32 v12, v1
	s_add_co_i32 s15, s11, s30
	s_mov_b32 s16, 0
	s_delay_alu instid0(VALU_DEP_2)
	v_cmp_gt_i32_e64 s2, s25, v10
	s_mul_i32 s15, s15, s25
	s_lshl_b32 s17, s11, 3
	s_branch .LBB19_161
.LBB19_160:                             ;   in Loop: Header=BB19_161 Depth=3
	s_or_b32 exec_lo, exec_lo, s28
	v_add_nc_u32_e32 v12, 64, v12
	v_add_nc_u32_e32 v11, 0x8200, v11
	s_delay_alu instid0(VALU_DEP_2) | instskip(SKIP_1) | instid1(SALU_CYCLE_1)
	v_cmp_le_i32_e32 vcc_lo, s25, v12
	s_or_b32 s16, vcc_lo, s16
	s_and_not1_b32 exec_lo, exec_lo, s16
	s_cbranch_execz .LBB19_157
.LBB19_161:                             ;   Parent Loop BB19_145 Depth=1
                                        ;     Parent Loop BB19_158 Depth=2
                                        ; =>    This Loop Header: Depth=3
                                        ;         Child Loop BB19_164 Depth 4
	s_and_saveexec_b32 s28, s2
	s_cbranch_execz .LBB19_160
; %bb.162:                              ;   in Loop: Header=BB19_161 Depth=3
	v_mad_u32 v13, 0x208, v12, s17
	v_dual_mov_b32 v14, v11 :: v_dual_mov_b32 v15, v9
	v_mov_b32_e32 v16, v10
	s_mov_b32 s29, 0
	s_branch .LBB19_164
.LBB19_163:                             ;   in Loop: Header=BB19_164 Depth=4
	global_load_b64 v[18:19], v17, s[12:13] scale_offset
	ds_load_b64 v[20:21], v13
	ds_load_b64 v[22:23], v14
	v_dual_add_nc_u32 v16, 1, v16 :: v_dual_add_nc_u32 v15, s25, v15
	s_delay_alu instid0(VALU_DEP_1) | instskip(SKIP_3) | instid1(VALU_DEP_1)
	v_cmp_le_i32_e32 vcc_lo, s25, v16
	s_or_b32 s29, vcc_lo, s29
	s_wait_loadcnt_dscnt 0x0
	v_pk_fma_f32 v[22:23], v[18:19], v[20:21], v[22:23] op_sel_hi:[1,0,1] neg_lo:[1,0,0] neg_hi:[1,0,0]
	v_pk_fma_f32 v[18:19], v[18:19], v[20:21], v[22:23] op_sel:[1,1,0] op_sel_hi:[0,1,1] neg_hi:[1,0,0]
	ds_store_b64 v14, v[18:19]
	v_add_nc_u32_e32 v14, 8, v14
	s_wait_xcnt 0x0
	s_and_not1_b32 exec_lo, exec_lo, s29
	s_cbranch_execz .LBB19_160
.LBB19_164:                             ;   Parent Loop BB19_145 Depth=1
                                        ;     Parent Loop BB19_158 Depth=2
                                        ;       Parent Loop BB19_161 Depth=3
                                        ; =>      This Inner Loop Header: Depth=4
	s_delay_alu instid0(VALU_DEP_2)
	v_mov_b32_e32 v17, v15
	s_and_not1_b32 vcc_lo, exec_lo, s4
	s_cbranch_vccnz .LBB19_163
; %bb.165:                              ;   in Loop: Header=BB19_164 Depth=4
	v_add_nc_u32_e32 v17, s15, v16
	s_branch .LBB19_163
.LBB19_166:                             ;   in Loop: Header=BB19_145 Depth=1
	s_wait_dscnt 0x0
	s_and_saveexec_b32 s2, s0
	s_cbranch_execz .LBB19_176
; %bb.167:                              ;   in Loop: Header=BB19_145 Depth=1
	v_dual_mov_b32 v8, v6 :: v_dual_mov_b32 v9, v3
	v_mov_b32_e32 v10, v1
	s_mov_b32 s11, 0
	s_branch .LBB19_169
.LBB19_168:                             ;   in Loop: Header=BB19_169 Depth=2
	s_or_b32 exec_lo, exec_lo, s14
	v_dual_add_nc_u32 v10, 64, v10 :: v_dual_add_nc_u32 v9, s8, v9
	v_add_nc_u32_e32 v8, 0x200, v8
	s_delay_alu instid0(VALU_DEP_2) | instskip(SKIP_1) | instid1(SALU_CYCLE_1)
	v_cmp_le_i32_e32 vcc_lo, s25, v10
	s_or_b32 s11, vcc_lo, s11
	s_and_not1_b32 exec_lo, exec_lo, s11
	s_cbranch_execz .LBB19_176
.LBB19_169:                             ;   Parent Loop BB19_145 Depth=1
                                        ; =>  This Loop Header: Depth=2
                                        ;       Child Loop BB19_172 Depth 3
	s_and_saveexec_b32 s14, s1
	s_cbranch_execz .LBB19_168
; %bb.170:                              ;   in Loop: Header=BB19_169 Depth=2
	v_dual_mov_b32 v11, v8 :: v_dual_mov_b32 v12, v2
	s_mov_b32 s15, 0
	s_branch .LBB19_172
.LBB19_171:                             ;   in Loop: Header=BB19_172 Depth=3
	ds_load_b64 v[14:15], v11
	v_add_nc_u32_e32 v12, 1, v12
	v_add_nc_u32_e32 v11, 0x208, v11
	s_delay_alu instid0(VALU_DEP_2)
	v_cmp_le_i32_e32 vcc_lo, s25, v12
	s_or_b32 s15, vcc_lo, s15
	s_wait_dscnt 0x0
	global_store_b64 v13, v[14:15], s[12:13] scale_offset
	s_wait_xcnt 0x0
	s_and_not1_b32 exec_lo, exec_lo, s15
	s_cbranch_execz .LBB19_168
.LBB19_172:                             ;   Parent Loop BB19_145 Depth=1
                                        ;     Parent Loop BB19_169 Depth=2
                                        ; =>    This Inner Loop Header: Depth=3
	s_and_b32 vcc_lo, exec_lo, s4
	s_cbranch_vccz .LBB19_174
; %bb.173:                              ;   in Loop: Header=BB19_172 Depth=3
	v_add_nc_u32_e32 v13, s10, v12
	s_delay_alu instid0(VALU_DEP_1)
	v_mad_u32 v13, v13, s25, v10
	s_cbranch_execnz .LBB19_171
	s_branch .LBB19_175
.LBB19_174:                             ;   in Loop: Header=BB19_172 Depth=3
                                        ; implicit-def: $vgpr13
.LBB19_175:                             ;   in Loop: Header=BB19_172 Depth=3
	v_add_nc_u32_e32 v13, v9, v12
	s_branch .LBB19_171
.LBB19_176:                             ;   in Loop: Header=BB19_145 Depth=1
	s_or_b32 exec_lo, exec_lo, s2
; %bb.177:                              ;   in Loop: Header=BB19_145 Depth=1
	v_add_nc_u32_e32 v3, s6, v3
	s_add_co_i32 s3, s3, 1
	s_delay_alu instid0(SALU_CYCLE_1)
	s_cmp_ge_i32 s3, s27
	s_cbranch_scc0 .LBB19_145
.LBB19_178:
	v_and_b32_e32 v0, 0xfffff, v0
	s_mov_b32 s0, exec_lo
	s_delay_alu instid0(VALU_DEP_1)
	v_cmpx_eq_u32_e32 0, v0
	s_cbranch_execz .LBB19_182
; %bb.179:
	v_dual_mov_b32 v0, 0 :: v_dual_mov_b32 v1, 1
	s_add_nc_u64 s[0:1], s[20:21], s[22:23]
	s_and_not1_b32 vcc_lo, exec_lo, s7
	global_wb scope:SCOPE_DEV
	s_wait_storecnt 0x0
	s_wait_loadcnt_dscnt 0x0
	global_store_b32 v0, v1, s[0:1] scope:SCOPE_DEV
	s_cbranch_vccnz .LBB19_182
; %bb.180:
	s_wait_xcnt 0x0
	v_mbcnt_lo_u32_b32 v0, exec_lo, 0
	s_delay_alu instid0(VALU_DEP_1)
	v_cmp_eq_u32_e32 vcc_lo, 0, v0
	s_and_b32 exec_lo, exec_lo, vcc_lo
	s_cbranch_execz .LBB19_182
; %bb.181:
	s_add_co_i32 s0, s26, s24
	s_delay_alu instid0(SALU_CYCLE_1)
	v_dual_mov_b32 v0, 0 :: v_dual_mov_b32 v1, s0
	global_atomic_min_i32 v0, v1, s[18:19] scope:SCOPE_DEV
.LBB19_182:
	s_endpgm
	.section	.rodata,"a",@progbits
	.p2align	6, 0x0
	.amdhsa_kernel _ZN9rocsparseL13bsrilu0_33_64ILj64ELj64ELj64E21rocsparse_complex_numIfEEEv20rocsparse_direction_iPKiS5_PT2_S5_iPiS5_S8_21rocsparse_index_base_imNS_24const_host_device_scalarIfEENSA_IdEENSA_IS6_EEb
		.amdhsa_group_segment_fixed_size 33280
		.amdhsa_private_segment_fixed_size 0
		.amdhsa_kernarg_size 116
		.amdhsa_user_sgpr_count 2
		.amdhsa_user_sgpr_dispatch_ptr 0
		.amdhsa_user_sgpr_queue_ptr 0
		.amdhsa_user_sgpr_kernarg_segment_ptr 1
		.amdhsa_user_sgpr_dispatch_id 0
		.amdhsa_user_sgpr_kernarg_preload_length 0
		.amdhsa_user_sgpr_kernarg_preload_offset 0
		.amdhsa_user_sgpr_private_segment_size 0
		.amdhsa_wavefront_size32 1
		.amdhsa_uses_dynamic_stack 0
		.amdhsa_enable_private_segment 0
		.amdhsa_system_sgpr_workgroup_id_x 1
		.amdhsa_system_sgpr_workgroup_id_y 0
		.amdhsa_system_sgpr_workgroup_id_z 0
		.amdhsa_system_sgpr_workgroup_info 0
		.amdhsa_system_vgpr_workitem_id 1
		.amdhsa_next_free_vgpr 161
		.amdhsa_next_free_sgpr 49
		.amdhsa_named_barrier_count 0
		.amdhsa_reserve_vcc 1
		.amdhsa_float_round_mode_32 0
		.amdhsa_float_round_mode_16_64 0
		.amdhsa_float_denorm_mode_32 3
		.amdhsa_float_denorm_mode_16_64 3
		.amdhsa_fp16_overflow 0
		.amdhsa_memory_ordered 1
		.amdhsa_forward_progress 1
		.amdhsa_inst_pref_size 44
		.amdhsa_round_robin_scheduling 0
		.amdhsa_exception_fp_ieee_invalid_op 0
		.amdhsa_exception_fp_denorm_src 0
		.amdhsa_exception_fp_ieee_div_zero 0
		.amdhsa_exception_fp_ieee_overflow 0
		.amdhsa_exception_fp_ieee_underflow 0
		.amdhsa_exception_fp_ieee_inexact 0
		.amdhsa_exception_int_div_zero 0
	.end_amdhsa_kernel
	.section	.text._ZN9rocsparseL13bsrilu0_33_64ILj64ELj64ELj64E21rocsparse_complex_numIfEEEv20rocsparse_direction_iPKiS5_PT2_S5_iPiS5_S8_21rocsparse_index_base_imNS_24const_host_device_scalarIfEENSA_IdEENSA_IS6_EEb,"axG",@progbits,_ZN9rocsparseL13bsrilu0_33_64ILj64ELj64ELj64E21rocsparse_complex_numIfEEEv20rocsparse_direction_iPKiS5_PT2_S5_iPiS5_S8_21rocsparse_index_base_imNS_24const_host_device_scalarIfEENSA_IdEENSA_IS6_EEb,comdat
.Lfunc_end19:
	.size	_ZN9rocsparseL13bsrilu0_33_64ILj64ELj64ELj64E21rocsparse_complex_numIfEEEv20rocsparse_direction_iPKiS5_PT2_S5_iPiS5_S8_21rocsparse_index_base_imNS_24const_host_device_scalarIfEENSA_IdEENSA_IS6_EEb, .Lfunc_end19-_ZN9rocsparseL13bsrilu0_33_64ILj64ELj64ELj64E21rocsparse_complex_numIfEEEv20rocsparse_direction_iPKiS5_PT2_S5_iPiS5_S8_21rocsparse_index_base_imNS_24const_host_device_scalarIfEENSA_IdEENSA_IS6_EEb
                                        ; -- End function
	.set _ZN9rocsparseL13bsrilu0_33_64ILj64ELj64ELj64E21rocsparse_complex_numIfEEEv20rocsparse_direction_iPKiS5_PT2_S5_iPiS5_S8_21rocsparse_index_base_imNS_24const_host_device_scalarIfEENSA_IdEENSA_IS6_EEb.num_vgpr, 40
	.set _ZN9rocsparseL13bsrilu0_33_64ILj64ELj64ELj64E21rocsparse_complex_numIfEEEv20rocsparse_direction_iPKiS5_PT2_S5_iPiS5_S8_21rocsparse_index_base_imNS_24const_host_device_scalarIfEENSA_IdEENSA_IS6_EEb.num_agpr, 0
	.set _ZN9rocsparseL13bsrilu0_33_64ILj64ELj64ELj64E21rocsparse_complex_numIfEEEv20rocsparse_direction_iPKiS5_PT2_S5_iPiS5_S8_21rocsparse_index_base_imNS_24const_host_device_scalarIfEENSA_IdEENSA_IS6_EEb.numbered_sgpr, 49
	.set _ZN9rocsparseL13bsrilu0_33_64ILj64ELj64ELj64E21rocsparse_complex_numIfEEEv20rocsparse_direction_iPKiS5_PT2_S5_iPiS5_S8_21rocsparse_index_base_imNS_24const_host_device_scalarIfEENSA_IdEENSA_IS6_EEb.num_named_barrier, 0
	.set _ZN9rocsparseL13bsrilu0_33_64ILj64ELj64ELj64E21rocsparse_complex_numIfEEEv20rocsparse_direction_iPKiS5_PT2_S5_iPiS5_S8_21rocsparse_index_base_imNS_24const_host_device_scalarIfEENSA_IdEENSA_IS6_EEb.private_seg_size, 0
	.set _ZN9rocsparseL13bsrilu0_33_64ILj64ELj64ELj64E21rocsparse_complex_numIfEEEv20rocsparse_direction_iPKiS5_PT2_S5_iPiS5_S8_21rocsparse_index_base_imNS_24const_host_device_scalarIfEENSA_IdEENSA_IS6_EEb.uses_vcc, 1
	.set _ZN9rocsparseL13bsrilu0_33_64ILj64ELj64ELj64E21rocsparse_complex_numIfEEEv20rocsparse_direction_iPKiS5_PT2_S5_iPiS5_S8_21rocsparse_index_base_imNS_24const_host_device_scalarIfEENSA_IdEENSA_IS6_EEb.uses_flat_scratch, 0
	.set _ZN9rocsparseL13bsrilu0_33_64ILj64ELj64ELj64E21rocsparse_complex_numIfEEEv20rocsparse_direction_iPKiS5_PT2_S5_iPiS5_S8_21rocsparse_index_base_imNS_24const_host_device_scalarIfEENSA_IdEENSA_IS6_EEb.has_dyn_sized_stack, 0
	.set _ZN9rocsparseL13bsrilu0_33_64ILj64ELj64ELj64E21rocsparse_complex_numIfEEEv20rocsparse_direction_iPKiS5_PT2_S5_iPiS5_S8_21rocsparse_index_base_imNS_24const_host_device_scalarIfEENSA_IdEENSA_IS6_EEb.has_recursion, 0
	.set _ZN9rocsparseL13bsrilu0_33_64ILj64ELj64ELj64E21rocsparse_complex_numIfEEEv20rocsparse_direction_iPKiS5_PT2_S5_iPiS5_S8_21rocsparse_index_base_imNS_24const_host_device_scalarIfEENSA_IdEENSA_IS6_EEb.has_indirect_call, 0
	.section	.AMDGPU.csdata,"",@progbits
; Kernel info:
; codeLenInByte = 5584
; TotalNumSgprs: 51
; NumVgprs: 40
; ScratchSize: 0
; MemoryBound: 0
; FloatMode: 240
; IeeeMode: 1
; LDSByteSize: 33280 bytes/workgroup (compile time only)
; SGPRBlocks: 0
; VGPRBlocks: 10
; NumSGPRsForWavesPerEU: 51
; NumVGPRsForWavesPerEU: 161
; NamedBarCnt: 0
; Occupancy: 5
; WaveLimiterHint : 1
; COMPUTE_PGM_RSRC2:SCRATCH_EN: 0
; COMPUTE_PGM_RSRC2:USER_SGPR: 2
; COMPUTE_PGM_RSRC2:TRAP_HANDLER: 0
; COMPUTE_PGM_RSRC2:TGID_X_EN: 1
; COMPUTE_PGM_RSRC2:TGID_Y_EN: 0
; COMPUTE_PGM_RSRC2:TGID_Z_EN: 0
; COMPUTE_PGM_RSRC2:TIDIG_COMP_CNT: 1
	.section	.text._ZN9rocsparseL15bsrilu0_generalILj128ELj64ELb0E21rocsparse_complex_numIfEEEv20rocsparse_direction_iPKiS5_PT2_S5_iPiS5_S8_21rocsparse_index_base_imNS_24const_host_device_scalarIfEENSA_IdEENSA_IS6_EEb,"axG",@progbits,_ZN9rocsparseL15bsrilu0_generalILj128ELj64ELb0E21rocsparse_complex_numIfEEEv20rocsparse_direction_iPKiS5_PT2_S5_iPiS5_S8_21rocsparse_index_base_imNS_24const_host_device_scalarIfEENSA_IdEENSA_IS6_EEb,comdat
	.globl	_ZN9rocsparseL15bsrilu0_generalILj128ELj64ELb0E21rocsparse_complex_numIfEEEv20rocsparse_direction_iPKiS5_PT2_S5_iPiS5_S8_21rocsparse_index_base_imNS_24const_host_device_scalarIfEENSA_IdEENSA_IS6_EEb ; -- Begin function _ZN9rocsparseL15bsrilu0_generalILj128ELj64ELb0E21rocsparse_complex_numIfEEEv20rocsparse_direction_iPKiS5_PT2_S5_iPiS5_S8_21rocsparse_index_base_imNS_24const_host_device_scalarIfEENSA_IdEENSA_IS6_EEb
	.p2align	8
	.type	_ZN9rocsparseL15bsrilu0_generalILj128ELj64ELb0E21rocsparse_complex_numIfEEEv20rocsparse_direction_iPKiS5_PT2_S5_iPiS5_S8_21rocsparse_index_base_imNS_24const_host_device_scalarIfEENSA_IdEENSA_IS6_EEb,@function
_ZN9rocsparseL15bsrilu0_generalILj128ELj64ELb0E21rocsparse_complex_numIfEEEv20rocsparse_direction_iPKiS5_PT2_S5_iPiS5_S8_21rocsparse_index_base_imNS_24const_host_device_scalarIfEENSA_IdEENSA_IS6_EEb: ; @_ZN9rocsparseL15bsrilu0_generalILj128ELj64ELb0E21rocsparse_complex_numIfEEEv20rocsparse_direction_iPKiS5_PT2_S5_iPiS5_S8_21rocsparse_index_base_imNS_24const_host_device_scalarIfEENSA_IdEENSA_IS6_EEb
; %bb.0:
	s_clause 0x2
	s_load_b32 s2, s[0:1], 0x70
	s_load_b64 s[6:7], s[0:1], 0x48
	s_load_b256 s[16:23], s[0:1], 0x50
	s_wait_kmcnt 0x0
	s_bitcmp1_b32 s2, 0
	s_cselect_b32 s4, -1, 0
	s_cmp_eq_u32 s7, 0
	s_cselect_b32 s2, -1, 0
	s_cmp_lg_u32 s7, 0
	s_cselect_b32 s5, -1, 0
	s_or_b32 s8, s2, s4
	s_delay_alu instid0(SALU_CYCLE_1)
	s_xor_b32 s7, s8, -1
	s_and_b32 s2, s2, exec_lo
	s_cselect_b32 s3, 0, s21
	s_cselect_b32 s2, 0, s20
	;; [unrolled: 1-line block ×3, first 2 shown]
	s_and_b32 vcc_lo, exec_lo, s8
	s_cbranch_vccnz .LBB20_2
; %bb.1:
	s_load_b32 s28, s[18:19], 0x0
	s_mov_b64 s[2:3], s[20:21]
.LBB20_2:
	s_delay_alu instid0(SALU_CYCLE_1)
	v_mov_b64_e32 v[4:5], s[2:3]
	s_and_not1_b32 vcc_lo, exec_lo, s7
	s_cbranch_vccnz .LBB20_4
; %bb.3:
	v_mov_b32_e32 v1, 0
	flat_load_b64 v[4:5], v1, s[20:21]
.LBB20_4:
	v_cndmask_b32_e64 v24, 0, 1, s5
	s_mov_b32 s26, 0
	s_and_not1_b32 vcc_lo, exec_lo, s5
	s_mov_b32 s27, s26
	s_cbranch_vccnz .LBB20_10
; %bb.5:
	s_xor_b32 s2, s4, -1
	s_mov_b32 s26, s22
	s_wait_xcnt 0x0
	v_cndmask_b32_e64 v1, 0, 1, s2
	s_and_not1_b32 vcc_lo, exec_lo, s2
	s_cbranch_vccnz .LBB20_7
; %bb.6:
	s_load_b32 s26, s[22:23], 0x0
.LBB20_7:
	s_delay_alu instid0(VALU_DEP_1)
	v_cmp_ne_u32_e32 vcc_lo, 1, v1
	s_cbranch_vccnz .LBB20_9
; %bb.8:
	s_wait_xcnt 0x0
	s_load_b32 s23, s[22:23], 0x4
.LBB20_9:
	s_wait_kmcnt 0x0
	s_mov_b32 s27, s23
.LBB20_10:
	s_load_b64 s[24:25], s[0:1], 0x0
	s_bfe_u32 s2, ttmp6, 0x4000c
	s_and_b32 s3, ttmp6, 15
	s_add_co_i32 s2, s2, 1
	s_getreg_b32 s4, hwreg(HW_REG_IB_STS2, 6, 4)
	s_mul_i32 s2, ttmp9, s2
	v_lshrrev_b32_e32 v1, 6, v0
	s_add_co_i32 s3, s3, s2
	s_cmp_eq_u32 s4, 0
	s_cselect_b32 s2, ttmp9, s3
	s_delay_alu instid0(SALU_CYCLE_1) | instskip(NEXT) | instid1(SALU_CYCLE_1)
	s_lshl_b32 s2, s2, 1
	v_and_or_b32 v1, 0x3fffffe, s2, v1
	s_mov_b32 s2, exec_lo
	s_wait_kmcnt 0x0
	s_delay_alu instid0(VALU_DEP_1)
	v_cmpx_gt_i32_e64 s25, v1
	s_cbranch_execz .LBB20_149
; %bb.11:
	s_clause 0x2
	s_load_b128 s[20:23], s[0:1], 0x30
	s_load_b64 s[18:19], s[0:1], 0x40
	s_load_b256 s[8:15], s[0:1], 0x8
	s_mov_b32 s2, -1
	s_mov_b32 s5, exec_lo
	s_wait_kmcnt 0x0
	global_load_b32 v2, v1, s[22:23] scale_offset
	s_wait_loadcnt 0x0
	v_dual_ashrrev_i32 v3, 31, v2 :: v_dual_bitop2_b32 v22, 63, v0 bitop3:0x40
	global_load_b32 v25, v2, s[14:15] scale_offset
	s_wait_loadcnt 0x0
	v_cmpx_ne_u32_e32 -1, v25
	s_cbranch_execz .LBB20_143
; %bb.12:
	v_lshl_add_u64 v[0:1], v[2:3], 2, s[8:9]
	s_load_b32 s7, s[0:1], 0x28
	s_mov_b32 s2, 0
	s_mov_b32 s22, exec_lo
	global_load_b64 v[0:1], v[0:1], off
	s_wait_loadcnt 0x0
	v_subrev_nc_u32_e32 v26, s6, v0
	v_subrev_nc_u32_e32 v23, s6, v1
	s_delay_alu instid0(VALU_DEP_2)
	v_cmpx_lt_i32_e64 v26, v25
	s_cbranch_execz .LBB20_78
; %bb.13:
	s_wait_kmcnt 0x0
	v_mad_u32 v1, s7, v26, v22
	s_cmp_gt_i32 s7, 0
	v_cmp_gt_i32_e64 s0, s7, v22
	v_cmp_le_i32_e64 s1, s7, v22
	s_cselect_b32 s29, -1, 0
	s_cmp_lg_u32 s24, 0
	s_mov_b32 s36, 0
	s_mul_i32 s23, s7, s7
	s_cselect_b32 s30, -1, 0
	s_add_co_i32 s25, s25, 1
	s_add_co_i32 s31, s7, 1
	v_mul_lo_u32 v27, s7, v1
	v_add_nc_u32_e32 v0, v26, v22
	s_lshl_b32 s33, s7, 6
	s_add_co_i32 s34, s7, -1
	s_mov_b32 s35, 0
                                        ; implicit-def: $sgpr37
                                        ; implicit-def: $sgpr38
	s_delay_alu instid0(VALU_DEP_1) | instskip(NEXT) | instid1(VALU_DEP_1)
	v_ashrrev_i32_e32 v1, 31, v0
	v_lshl_add_u64 v[6:7], v[0:1], 2, s[10:11]
	s_delay_alu instid0(VALU_DEP_4)
	v_add_nc_u32_e32 v1, 1, v27
	v_cmp_lt_i32_e64 s2, v0, v23
	s_branch .LBB20_16
.LBB20_14:                              ;   in Loop: Header=BB20_16 Depth=1
	s_or_b32 exec_lo, exec_lo, s4
	s_delay_alu instid0(SALU_CYCLE_1) | instskip(SKIP_1) | instid1(SALU_CYCLE_1)
	s_and_not1_b32 s4, s38, exec_lo
	s_and_b32 s36, s36, exec_lo
	s_or_b32 s38, s4, s36
.LBB20_15:                              ;   in Loop: Header=BB20_16 Depth=1
	s_or_b32 exec_lo, exec_lo, s39
	v_dual_add_nc_u32 v26, 1, v26 :: v_dual_add_nc_u32 v1, s23, v1
	s_xor_b32 s3, s3, -1
	v_add_nc_u32_e32 v27, s23, v27
	s_mov_b32 s36, s38
	s_delay_alu instid0(VALU_DEP_2) | instskip(SKIP_1) | instid1(SALU_CYCLE_1)
	v_cmp_ge_i32_e32 vcc_lo, v26, v25
	s_or_b32 s3, s3, vcc_lo
	s_and_b32 s3, exec_lo, s3
	s_delay_alu instid0(SALU_CYCLE_1) | instskip(SKIP_2) | instid1(SALU_CYCLE_1)
	s_or_b32 s35, s3, s35
	s_and_not1_b32 s3, s37, exec_lo
	s_and_b32 s4, s38, exec_lo
	s_or_b32 s37, s3, s4
	s_and_not1_b32 exec_lo, exec_lo, s35
	s_cbranch_execz .LBB20_77
.LBB20_16:                              ; =>This Loop Header: Depth=1
                                        ;     Child Loop BB20_19 Depth 2
                                        ;     Child Loop BB20_24 Depth 2
                                        ;       Child Loop BB20_29 Depth 3
                                        ;         Child Loop BB20_38 Depth 4
                                        ;     Child Loop BB20_51 Depth 2
                                        ;       Child Loop BB20_56 Depth 3
                                        ;       Child Loop BB20_63 Depth 3
                                        ;         Child Loop BB20_65 Depth 4
                                        ;           Child Loop BB20_67 Depth 5
	s_wait_dscnt 0x0
	global_load_b32 v8, v26, s[10:11] scale_offset
	s_or_b32 s38, s38, exec_lo
	s_wait_loadcnt 0x0
	v_subrev_nc_u32_e32 v8, s6, v8
	global_load_b32 v29, v8, s[14:15] scale_offset
	s_wait_loadcnt 0x0
	v_cmp_ne_u32_e64 s3, -1, v29
	s_wait_xcnt 0x0
	s_and_saveexec_b32 s39, s3
	s_cbranch_execz .LBB20_15
; %bb.17:                               ;   in Loop: Header=BB20_16 Depth=1
	v_ashrrev_i32_e32 v9, 31, v8
	s_mov_b32 s4, exec_lo
	s_delay_alu instid0(VALU_DEP_1) | instskip(NEXT) | instid1(VALU_DEP_1)
	v_lshlrev_b64_e32 v[8:9], 2, v[8:9]
	v_add_nc_u64_e32 v[10:11], s[8:9], v[8:9]
	v_add_nc_u64_e32 v[8:9], s[20:21], v[8:9]
	global_load_b32 v30, v[10:11], off offset:4
	global_load_b32 v12, v[8:9], off scope:SCOPE_DEV
	s_wait_loadcnt 0x0
	s_wait_xcnt 0x0
	v_cmpx_eq_u32_e32 0, v12
	s_cbranch_execz .LBB20_20
; %bb.18:                               ;   in Loop: Header=BB20_16 Depth=1
	s_mov_b32 s40, 0
.LBB20_19:                              ;   Parent Loop BB20_16 Depth=1
                                        ; =>  This Inner Loop Header: Depth=2
	global_load_b32 v10, v[8:9], off scope:SCOPE_DEV
	s_wait_loadcnt 0x0
	v_cmp_ne_u32_e32 vcc_lo, 0, v10
	s_or_b32 s40, vcc_lo, s40
	s_wait_xcnt 0x0
	s_and_not1_b32 exec_lo, exec_lo, s40
	s_cbranch_execnz .LBB20_19
.LBB20_20:                              ;   in Loop: Header=BB20_16 Depth=1
	s_or_b32 exec_lo, exec_lo, s4
	v_mul_lo_u32 v28, v26, s7
	s_and_not1_b32 vcc_lo, exec_lo, s29
	s_wait_dscnt 0x0
	global_inv scope:SCOPE_DEV
	s_cbranch_vccnz .LBB20_47
; %bb.21:                               ;   in Loop: Header=BB20_16 Depth=1
	v_mul_lo_u32 v31, v29, s7
	v_mad_u32 v32, s23, v29, 1
	v_dual_mov_b32 v33, 0 :: v_dual_mov_b32 v34, v1
	s_mov_b32 s40, 0
	s_mov_b32 s41, s34
	s_branch .LBB20_24
.LBB20_22:                              ;   in Loop: Header=BB20_24 Depth=2
	s_or_b32 exec_lo, exec_lo, s43
	v_mov_b32_e32 v33, v35
.LBB20_23:                              ;   in Loop: Header=BB20_24 Depth=2
	s_or_b32 exec_lo, exec_lo, s42
	s_delay_alu instid0(VALU_DEP_1) | instskip(SKIP_3) | instid1(SALU_CYCLE_1)
	v_cmp_eq_u32_e32 vcc_lo, s7, v33
	v_dual_add_nc_u32 v32, s31, v32 :: v_dual_add_nc_u32 v34, 1, v34
	s_add_co_i32 s41, s41, -1
	s_or_b32 s40, vcc_lo, s40
	s_and_not1_b32 exec_lo, exec_lo, s40
	s_cbranch_execz .LBB20_46
.LBB20_24:                              ;   Parent Loop BB20_16 Depth=1
                                        ; =>  This Loop Header: Depth=2
                                        ;       Child Loop BB20_29 Depth 3
                                        ;         Child Loop BB20_38 Depth 4
	s_delay_alu instid0(VALU_DEP_1) | instskip(SKIP_1) | instid1(SALU_CYCLE_1)
	v_add_nc_u32_e32 v35, 1, v33
	s_and_saveexec_b32 s4, s1
	s_xor_b32 s4, exec_lo, s4
; %bb.25:                               ;   in Loop: Header=BB20_24 Depth=2
	v_add_nc_u32_e32 v33, 1, v33
                                        ; implicit-def: $vgpr35
; %bb.26:                               ;   in Loop: Header=BB20_24 Depth=2
	s_and_not1_saveexec_b32 s42, s4
	s_cbranch_execz .LBB20_23
; %bb.27:                               ;   in Loop: Header=BB20_24 Depth=2
	s_delay_alu instid0(VALU_DEP_1)
	v_add_nc_u32_e32 v8, v33, v31
	v_cmp_gt_i32_e64 s4, s7, v35
	v_mov_b32_e32 v38, v22
	s_mov_b32 s43, 0
	v_mov_b32_e32 v37, v34
	v_mad_u32 v8, v8, s7, v33
	global_load_b64 v[8:9], v8, s[12:13] scale_offset
	s_wait_loadcnt 0x0
	v_mul_f32_e32 v10, v9, v9
	s_delay_alu instid0(VALU_DEP_1) | instskip(NEXT) | instid1(VALU_DEP_1)
	v_fmac_f32_e32 v10, v8, v8
	v_div_scale_f32 v11, null, v10, v10, 1.0
	v_div_scale_f32 v14, vcc_lo, 1.0, v10, 1.0
	s_delay_alu instid0(VALU_DEP_2) | instskip(SKIP_1) | instid1(TRANS32_DEP_1)
	v_rcp_f32_e32 v12, v11
	v_nop
	v_fma_f32 v13, -v11, v12, 1.0
	s_delay_alu instid0(VALU_DEP_1) | instskip(NEXT) | instid1(VALU_DEP_1)
	v_fmac_f32_e32 v12, v13, v12
	v_mul_f32_e32 v13, v14, v12
	s_delay_alu instid0(VALU_DEP_1) | instskip(NEXT) | instid1(VALU_DEP_1)
	v_fma_f32 v15, -v11, v13, v14
	v_fmac_f32_e32 v13, v15, v12
	s_delay_alu instid0(VALU_DEP_1) | instskip(NEXT) | instid1(VALU_DEP_1)
	v_dual_fma_f32 v11, -v11, v13, v14 :: v_dual_add_nc_u32 v14, v33, v28
	v_div_fmas_f32 v11, v11, v12, v13
	s_delay_alu instid0(VALU_DEP_2) | instskip(SKIP_1) | instid1(VALU_DEP_3)
	v_mul_lo_u32 v36, v14, s7
	v_dual_mov_b32 v12, v8 :: v_dual_mov_b32 v13, v8
	v_div_fixup_f32 v10, v11, v10, 1.0
	s_wait_xcnt 0x0
	s_delay_alu instid0(VALU_DEP_1)
	v_dual_mov_b32 v8, v9 :: v_dual_mov_b32 v11, v10
	s_branch .LBB20_29
.LBB20_28:                              ;   in Loop: Header=BB20_29 Depth=3
	s_wait_xcnt 0x0
	s_or_b32 exec_lo, exec_lo, s44
	v_dual_add_nc_u32 v38, 64, v38 :: v_dual_add_nc_u32 v37, s33, v37
	s_delay_alu instid0(VALU_DEP_1) | instskip(SKIP_1) | instid1(SALU_CYCLE_1)
	v_cmp_le_i32_e32 vcc_lo, s7, v38
	s_or_b32 s43, vcc_lo, s43
	s_and_not1_b32 exec_lo, exec_lo, s43
	s_cbranch_execz .LBB20_22
.LBB20_29:                              ;   Parent Loop BB20_16 Depth=1
                                        ;     Parent Loop BB20_24 Depth=2
                                        ; =>    This Loop Header: Depth=3
                                        ;         Child Loop BB20_38 Depth 4
	s_delay_alu instid0(VALU_DEP_4)
	v_add_nc_u32_e32 v16, v38, v36
	s_and_b32 vcc_lo, exec_lo, s30
	s_cbranch_vccz .LBB20_44
; %bb.30:                               ;   in Loop: Header=BB20_29 Depth=3
	v_add_nc_u32_e32 v14, v38, v36
	v_add_nc_u32_e32 v15, v38, v28
	s_delay_alu instid0(VALU_DEP_1)
	v_mad_u32 v17, v15, s7, v33
	s_cbranch_execnz .LBB20_32
.LBB20_31:                              ;   in Loop: Header=BB20_29 Depth=3
	v_mad_u32 v14, v15, s7, v33
.LBB20_32:                              ;   in Loop: Header=BB20_29 Depth=3
	global_load_b64 v[14:15], v14, s[12:13] scale_offset
	s_and_b32 vcc_lo, exec_lo, s30
	s_cbranch_vccz .LBB20_45
; %bb.33:                               ;   in Loop: Header=BB20_29 Depth=3
	s_cbranch_execnz .LBB20_35
.LBB20_34:                              ;   in Loop: Header=BB20_29 Depth=3
	v_mov_b32_e32 v16, v17
.LBB20_35:                              ;   in Loop: Header=BB20_29 Depth=3
	s_wait_loadcnt 0x0
	v_pk_mul_f32 v[18:19], v[8:9], v[14:15] op_sel:[0,1] op_sel_hi:[1,0] neg_hi:[0,1]
	s_wait_xcnt 0x0
	s_delay_alu instid0(VALU_DEP_1) | instskip(NEXT) | instid1(VALU_DEP_1)
	v_pk_fma_f32 v[14:15], v[14:15], v[12:13], v[18:19]
	v_pk_mul_f32 v[14:15], v[10:11], v[14:15]
	global_store_b64 v16, v[14:15], s[12:13] scale_offset
	s_wait_xcnt 0x0
	s_and_saveexec_b32 s44, s4
	s_cbranch_execz .LBB20_28
; %bb.36:                               ;   in Loop: Header=BB20_29 Depth=3
	v_xor_b32_e32 v17, 0x80000000, v14
	v_dual_mov_b32 v16, v15 :: v_dual_mov_b32 v39, v37
	v_dual_mov_b32 v40, v32 :: v_dual_mov_b32 v41, v35
	s_mov_b32 s45, s41
	s_branch .LBB20_38
.LBB20_37:                              ;   in Loop: Header=BB20_38 Depth=4
	s_wait_loadcnt 0x0
	s_wait_xcnt 0x0
	v_pk_fma_f32 v[20:21], v[14:15], v[18:19], v[20:21] op_sel_hi:[1,0,1] neg_lo:[1,0,0] neg_hi:[1,0,0]
	v_dual_add_nc_u32 v41, 1, v41 :: v_dual_add_nc_u32 v40, 1, v40
	v_add_nc_u32_e32 v39, 1, v39
	s_add_co_i32 s45, s45, -1
	s_delay_alu instid0(VALU_DEP_3)
	v_pk_fma_f32 v[18:19], v[16:17], v[18:19], v[20:21] op_sel:[0,1,0]
	s_cmp_eq_u32 s45, 0
	global_store_b64 v43, v[18:19], s[12:13] scale_offset
	s_cbranch_scc1 .LBB20_28
.LBB20_38:                              ;   Parent Loop BB20_16 Depth=1
                                        ;     Parent Loop BB20_24 Depth=2
                                        ;       Parent Loop BB20_29 Depth=3
                                        ; =>      This Inner Loop Header: Depth=4
	s_wait_xcnt 0x0
	s_delay_alu instid0(VALU_DEP_1)
	v_mov_b32_e32 v18, v40
	s_and_not1_b32 vcc_lo, exec_lo, s30
	s_cbranch_vccnz .LBB20_40
; %bb.39:                               ;   in Loop: Header=BB20_38 Depth=4
	v_add_nc_u32_e32 v18, v41, v31
	s_delay_alu instid0(VALU_DEP_1)
	v_mad_u32 v18, v18, s7, v33
.LBB20_40:                              ;   in Loop: Header=BB20_38 Depth=4
	global_load_b64 v[18:19], v18, s[12:13] scale_offset
	v_dual_mov_b32 v21, v39 :: v_dual_add_nc_u32 v20, v41, v28
	s_and_not1_b32 vcc_lo, exec_lo, s30
	s_delay_alu instid0(VALU_DEP_1)
	v_mad_u32 v42, v20, s7, v38
	s_cbranch_vccnz .LBB20_42
; %bb.41:                               ;   in Loop: Header=BB20_38 Depth=4
	v_mad_u32 v21, v20, s7, v38
.LBB20_42:                              ;   in Loop: Header=BB20_38 Depth=4
	global_load_b64 v[20:21], v21, s[12:13] scale_offset
	v_mov_b32_e32 v43, v39
	s_and_not1_b32 vcc_lo, exec_lo, s30
	s_cbranch_vccnz .LBB20_37
; %bb.43:                               ;   in Loop: Header=BB20_38 Depth=4
	v_mov_b32_e32 v43, v42
	s_branch .LBB20_37
.LBB20_44:                              ;   in Loop: Header=BB20_29 Depth=3
                                        ; implicit-def: $vgpr14
	v_add_nc_u32_e32 v15, v38, v28
	s_delay_alu instid0(VALU_DEP_1)
	v_mad_u32 v17, v15, s7, v33
	s_branch .LBB20_31
.LBB20_45:                              ;   in Loop: Header=BB20_29 Depth=3
                                        ; implicit-def: $vgpr16
	s_branch .LBB20_34
.LBB20_46:                              ;   in Loop: Header=BB20_16 Depth=1
	s_or_b32 exec_lo, exec_lo, s40
.LBB20_47:                              ;   in Loop: Header=BB20_16 Depth=1
	v_subrev_nc_u32_e32 v12, s6, v30
	v_add_nc_u32_e32 v13, 1, v29
	s_mov_b32 s4, exec_lo
	s_delay_alu instid0(VALU_DEP_1)
	v_cmpx_lt_i32_e64 v13, v12
	s_cbranch_execz .LBB20_14
; %bb.48:                               ;   in Loop: Header=BB20_16 Depth=1
	v_mul_lo_u32 v14, s23, v13
	s_mov_b32 s40, 0
	s_branch .LBB20_51
.LBB20_49:                              ;   in Loop: Header=BB20_51 Depth=2
	s_or_b32 exec_lo, exec_lo, s41
.LBB20_50:                              ;   in Loop: Header=BB20_51 Depth=2
	v_dual_add_nc_u32 v13, 1, v13 :: v_dual_add_nc_u32 v14, s23, v14
	s_delay_alu instid0(VALU_DEP_1) | instskip(SKIP_1) | instid1(SALU_CYCLE_1)
	v_cmp_ge_i32_e32 vcc_lo, v13, v12
	s_or_b32 s40, vcc_lo, s40
	s_and_not1_b32 exec_lo, exec_lo, s40
	s_cbranch_execz .LBB20_14
.LBB20_51:                              ;   Parent Loop BB20_16 Depth=1
                                        ; =>  This Loop Header: Depth=2
                                        ;       Child Loop BB20_56 Depth 3
                                        ;       Child Loop BB20_63 Depth 3
                                        ;         Child Loop BB20_65 Depth 4
                                        ;           Child Loop BB20_67 Depth 5
	s_wait_dscnt 0x0
	global_load_b32 v8, v13, s[10:11] scale_offset
	v_mov_b32_e32 v9, s25
	s_wait_xcnt 0x0
	s_and_saveexec_b32 s41, s2
	s_cbranch_execz .LBB20_53
; %bb.52:                               ;   in Loop: Header=BB20_51 Depth=2
	global_load_b32 v9, v[6:7], off
	s_wait_loadcnt 0x0
	v_subrev_nc_u32_e32 v9, s6, v9
.LBB20_53:                              ;   in Loop: Header=BB20_51 Depth=2
	s_wait_xcnt 0x0
	s_or_b32 exec_lo, exec_lo, s41
	s_wait_loadcnt 0x0
	v_subrev_nc_u32_e32 v8, s6, v8
	v_mov_b32_e32 v10, v0
	s_mov_b32 s41, exec_lo
	s_delay_alu instid0(VALU_DEP_2)
	v_cmpx_lt_i32_e64 v9, v8
	s_cbranch_execz .LBB20_59
; %bb.54:                               ;   in Loop: Header=BB20_51 Depth=2
	v_mov_b32_e32 v11, v0
	s_mov_b32 s42, 0
	s_branch .LBB20_56
.LBB20_55:                              ;   in Loop: Header=BB20_56 Depth=3
	s_wait_xcnt 0x0
	s_or_b32 exec_lo, exec_lo, s43
	s_delay_alu instid0(VALU_DEP_1) | instskip(SKIP_2) | instid1(SALU_CYCLE_1)
	v_cmp_ge_i32_e32 vcc_lo, v9, v8
	v_mov_b32_e32 v11, v10
	s_or_b32 s42, vcc_lo, s42
	s_and_not1_b32 exec_lo, exec_lo, s42
	s_cbranch_execz .LBB20_58
.LBB20_56:                              ;   Parent Loop BB20_16 Depth=1
                                        ;     Parent Loop BB20_51 Depth=2
                                        ; =>    This Inner Loop Header: Depth=3
	s_delay_alu instid0(VALU_DEP_1) | instskip(SKIP_1) | instid1(VALU_DEP_1)
	v_dual_mov_b32 v9, s25 :: v_dual_add_nc_u32 v10, 64, v11
	s_mov_b32 s43, exec_lo
	v_cmpx_lt_i32_e64 v10, v23
	s_cbranch_execz .LBB20_55
; %bb.57:                               ;   in Loop: Header=BB20_56 Depth=3
	global_load_b32 v9, v11, s[10:11] offset:256 scale_offset
	s_wait_loadcnt 0x0
	v_subrev_nc_u32_e32 v9, s6, v9
	s_branch .LBB20_55
.LBB20_58:                              ;   in Loop: Header=BB20_51 Depth=2
	s_or_b32 exec_lo, exec_lo, s42
.LBB20_59:                              ;   in Loop: Header=BB20_51 Depth=2
	s_delay_alu instid0(SALU_CYCLE_1)
	s_or_b32 exec_lo, exec_lo, s41
	v_cmp_eq_u32_e32 vcc_lo, v9, v8
	s_cbranch_vccz .LBB20_50
; %bb.60:                               ;   in Loop: Header=BB20_51 Depth=2
	s_ctz_i32_b32 s41, vcc_lo
	s_delay_alu instid0(SALU_CYCLE_1) | instskip(NEXT) | instid1(SALU_CYCLE_1)
	s_lshl_b32 s41, s41, 2
	v_mov_b32_e32 v8, s41
	ds_bpermute_b32 v8, v8, v10
	s_and_saveexec_b32 s41, s0
	s_cbranch_execz .LBB20_49
; %bb.61:                               ;   in Loop: Header=BB20_51 Depth=2
	v_mul_lo_u32 v15, v13, s7
	s_wait_dscnt 0x0
	v_mul_lo_u32 v16, v8, s7
	v_dual_mov_b32 v17, v27 :: v_dual_mov_b32 v18, v22
	s_mov_b32 s42, 0
	s_branch .LBB20_63
.LBB20_62:                              ;   in Loop: Header=BB20_63 Depth=3
	v_dual_add_nc_u32 v18, 64, v18 :: v_dual_add_nc_u32 v17, s33, v17
	s_delay_alu instid0(VALU_DEP_1)
	v_cmp_le_i32_e32 vcc_lo, s7, v18
	s_or_b32 s42, vcc_lo, s42
	s_wait_xcnt 0x0
	s_and_not1_b32 exec_lo, exec_lo, s42
	s_cbranch_execz .LBB20_49
.LBB20_63:                              ;   Parent Loop BB20_16 Depth=1
                                        ;     Parent Loop BB20_51 Depth=2
                                        ; =>    This Loop Header: Depth=3
                                        ;         Child Loop BB20_65 Depth 4
                                        ;           Child Loop BB20_67 Depth 5
	s_delay_alu instid0(VALU_DEP_1) | instskip(SKIP_2) | instid1(VALU_DEP_2)
	v_add_nc_u32_e32 v8, v18, v16
	v_mov_b32_e32 v20, v14
	s_mov_b32 s43, 0
	v_mul_lo_u32 v19, v8, s7
	s_branch .LBB20_65
.LBB20_64:                              ;   in Loop: Header=BB20_65 Depth=4
	global_load_b64 v[30:31], v10, s[12:13] scale_offset
	v_add_nc_u32_e32 v20, 1, v20
	s_add_co_i32 s43, s43, 1
	s_delay_alu instid0(SALU_CYCLE_1)
	s_cmp_eq_u32 s43, s7
	s_wait_loadcnt 0x0
	v_pk_add_f32 v[8:9], v[30:31], v[8:9] neg_lo:[0,1] neg_hi:[0,1]
	global_store_b64 v10, v[8:9], s[12:13] scale_offset
	s_cbranch_scc1 .LBB20_62
.LBB20_65:                              ;   Parent Loop BB20_16 Depth=1
                                        ;     Parent Loop BB20_51 Depth=2
                                        ;       Parent Loop BB20_63 Depth=3
                                        ; =>      This Loop Header: Depth=4
                                        ;           Child Loop BB20_67 Depth 5
	s_wait_xcnt 0x0
	v_dual_mov_b32 v29, v20 :: v_dual_add_nc_u32 v8, s43, v15
	s_mov_b32 s44, 0
	s_delay_alu instid0(VALU_DEP_1) | instskip(SKIP_1) | instid1(VALU_DEP_1)
	v_mul_lo_u32 v21, v8, s7
	v_mov_b32_e32 v8, 0
	v_mov_b32_e32 v9, v8
	s_branch .LBB20_67
.LBB20_66:                              ;   in Loop: Header=BB20_67 Depth=5
	global_load_b64 v[30:31], v30, s[12:13] scale_offset
	v_add_nc_u32_e32 v29, s7, v29
	s_add_co_i32 s44, s44, 1
	s_delay_alu instid0(SALU_CYCLE_1) | instskip(SKIP_2) | instid1(VALU_DEP_1)
	s_cmp_eq_u32 s7, s44
	s_wait_loadcnt 0x0
	v_pk_fma_f32 v[8:9], v[10:11], v[30:31], v[8:9] op_sel_hi:[1,0,1]
	v_pk_fma_f32 v[8:9], v[10:11], v[30:31], v[8:9] op_sel:[1,1,0] op_sel_hi:[0,1,1] neg_lo:[1,0,0]
	s_cbranch_scc1 .LBB20_73
.LBB20_67:                              ;   Parent Loop BB20_16 Depth=1
                                        ;     Parent Loop BB20_51 Depth=2
                                        ;       Parent Loop BB20_63 Depth=3
                                        ;         Parent Loop BB20_65 Depth=4
                                        ; =>        This Inner Loop Header: Depth=5
	s_and_b32 vcc_lo, exec_lo, s30
	s_cbranch_vccz .LBB20_72
; %bb.68:                               ;   in Loop: Header=BB20_67 Depth=5
	s_wait_xcnt 0x1
	v_add_nc_u32_e32 v10, s44, v28
	s_delay_alu instid0(VALU_DEP_1)
	v_mad_u32 v10, v10, s7, v18
	s_cbranch_execnz .LBB20_70
.LBB20_69:                              ;   in Loop: Header=BB20_67 Depth=5
	s_wait_xcnt 0x1
	v_add_nc_u32_e32 v10, s44, v17
.LBB20_70:                              ;   in Loop: Header=BB20_67 Depth=5
	global_load_b64 v[10:11], v10, s[12:13] scale_offset
	s_wait_xcnt 0x1
	v_mov_b32_e32 v30, v29
	s_and_not1_b32 vcc_lo, exec_lo, s30
	s_cbranch_vccnz .LBB20_66
; %bb.71:                               ;   in Loop: Header=BB20_67 Depth=5
	v_add_nc_u32_e32 v30, s44, v21
	s_branch .LBB20_66
.LBB20_72:                              ;   in Loop: Header=BB20_67 Depth=5
                                        ; implicit-def: $vgpr10
	s_branch .LBB20_69
.LBB20_73:                              ;   in Loop: Header=BB20_65 Depth=4
	s_and_b32 vcc_lo, exec_lo, s30
	s_cbranch_vccz .LBB20_75
; %bb.74:                               ;   in Loop: Header=BB20_65 Depth=4
	s_wait_xcnt 0x1
	v_add_nc_u32_e32 v10, s43, v16
	s_delay_alu instid0(VALU_DEP_1)
	v_mad_u32 v10, v10, s7, v18
	s_cbranch_execnz .LBB20_64
	s_branch .LBB20_76
.LBB20_75:                              ;   in Loop: Header=BB20_65 Depth=4
                                        ; implicit-def: $vgpr10
.LBB20_76:                              ;   in Loop: Header=BB20_65 Depth=4
	s_wait_xcnt 0x1
	v_add_nc_u32_e32 v10, s43, v19
	s_branch .LBB20_64
.LBB20_77:
	s_or_b32 exec_lo, exec_lo, s35
	s_delay_alu instid0(SALU_CYCLE_1)
	s_and_b32 s2, s37, exec_lo
.LBB20_78:
	s_or_b32 exec_lo, exec_lo, s22
	global_load_b32 v0, v25, s[10:11] scale_offset
	s_wait_kmcnt 0x0
	s_cmp_gt_i32 s7, 0
	s_mov_b32 s8, 0
	s_cselect_b32 s3, -1, 0
	s_wait_loadcnt 0x0
	v_subrev_nc_u32_e32 v0, s6, v0
	s_delay_alu instid0(VALU_DEP_1)
	v_cmp_eq_u32_e32 vcc_lo, v0, v2
	s_and_b32 s0, s3, vcc_lo
	s_wait_xcnt 0x0
	s_and_saveexec_b32 s4, s0
	s_cbranch_execz .LBB20_118
; %bb.79:
	v_cvt_f64_f32_e32 v[0:1], s28
	v_mul_lo_u32 v18, v25, s7
	s_cmp_eq_u64 s[16:17], 8
	s_mul_i32 s0, s7, s7
	s_cselect_b32 vcc_lo, -1, 0
	s_cmp_lg_u32 s24, 0
	v_mad_u32 v19, v25, s0, 1
	s_cselect_b32 s9, -1, 0
	s_add_co_i32 s10, s7, 1
	v_cmp_eq_u32_e64 s0, 0, v22
	s_lshl_b32 s11, s7, 6
	s_add_co_i32 s14, s7, -1
	v_add_nc_u32_e32 v6, v18, v22
	s_mov_b32 s16, s2
                                        ; implicit-def: $sgpr15
	s_wait_dscnt 0x0
	v_dual_mov_b32 v21, 0 :: v_dual_cndmask_b32 v0, v0, v4
	v_cndmask_b32_e32 v1, v1, v5, vcc_lo
	v_mad_u32 v20, s7, v6, s10
	s_branch .LBB20_81
.LBB20_80:                              ;   in Loop: Header=BB20_81 Depth=1
	s_or_b32 exec_lo, exec_lo, s1
	s_delay_alu instid0(VALU_DEP_1)
	v_cmp_eq_u32_e32 vcc_lo, s7, v27
	s_add_co_i32 s14, s14, -1
	v_dual_add_nc_u32 v19, s10, v19 :: v_dual_add_nc_u32 v20, s10, v20
	v_mov_b32_e32 v21, v27
	s_or_b32 s8, vcc_lo, s8
	s_and_not1_b32 s1, s15, exec_lo
	s_and_b32 s15, s16, exec_lo
	s_delay_alu instid0(SALU_CYCLE_1)
	s_or_b32 s15, s1, s15
	s_and_not1_b32 exec_lo, exec_lo, s8
	s_cbranch_execz .LBB20_117
.LBB20_81:                              ; =>This Loop Header: Depth=1
                                        ;     Child Loop BB20_97 Depth 2
                                        ;       Child Loop BB20_106 Depth 3
	s_delay_alu instid0(VALU_DEP_3)
	v_add_nc_u32_e32 v4, v21, v18
	v_cmp_ne_u32_e32 vcc_lo, 1, v24
	s_mov_b32 s17, 0
	s_mov_b32 s1, 0
	s_mov_b32 s22, -1
	v_mul_lo_u32 v26, v4, s7
	s_and_b32 vcc_lo, exec_lo, vcc_lo
                                        ; implicit-def: $vgpr4_vgpr5
	s_delay_alu instid0(VALU_DEP_1)
	v_add_nc_u32_e32 v8, v26, v21
	s_wait_loadcnt 0x0
	global_load_b64 v[6:7], v8, s[12:13] scale_offset
	s_cbranch_vccz .LBB20_84
; %bb.82:                               ;   in Loop: Header=BB20_81 Depth=1
	s_and_b32 vcc_lo, exec_lo, s22
	s_cbranch_vccnz .LBB20_93
.LBB20_83:                              ;   in Loop: Header=BB20_81 Depth=1
                                        ; implicit-def: $vgpr27
	s_wait_xcnt 0x0
	s_and_saveexec_b32 s22, s1
	s_delay_alu instid0(SALU_CYCLE_1)
	s_xor_b32 s22, exec_lo, s22
	s_cbranch_execnz .LBB20_94
	s_branch .LBB20_115
.LBB20_84:                              ;   in Loop: Header=BB20_81 Depth=1
	s_wait_loadcnt 0x0
	v_cmp_gt_f32_e32 vcc_lo, 0, v6
                                        ; implicit-def: $vgpr9
	s_mov_b32 s1, exec_lo
	v_cndmask_b32_e64 v4, v6, -v6, vcc_lo
	v_cmp_gt_f32_e32 vcc_lo, 0, v7
	v_cndmask_b32_e64 v5, v7, -v7, vcc_lo
	s_wait_xcnt 0x0
	s_delay_alu instid0(VALU_DEP_1)
	v_cmpx_ngt_f32_e32 v4, v5
	s_xor_b32 s22, exec_lo, s1
	s_cbranch_execz .LBB20_88
; %bb.85:                               ;   in Loop: Header=BB20_81 Depth=1
	v_mov_b32_e32 v9, 0
	s_mov_b32 s23, exec_lo
	v_cmpx_neq_f32_e32 0, v7
	s_cbranch_execz .LBB20_87
; %bb.86:                               ;   in Loop: Header=BB20_81 Depth=1
	v_div_scale_f32 v9, null, v5, v5, v4
	v_div_scale_f32 v12, vcc_lo, v4, v5, v4
	s_delay_alu instid0(VALU_DEP_2) | instskip(SKIP_1) | instid1(TRANS32_DEP_1)
	v_rcp_f32_e32 v10, v9
	v_nop
	v_fma_f32 v11, -v9, v10, 1.0
	s_delay_alu instid0(VALU_DEP_1) | instskip(NEXT) | instid1(VALU_DEP_1)
	v_fmac_f32_e32 v10, v11, v10
	v_mul_f32_e32 v11, v12, v10
	s_delay_alu instid0(VALU_DEP_1) | instskip(NEXT) | instid1(VALU_DEP_1)
	v_fma_f32 v13, -v9, v11, v12
	v_fmac_f32_e32 v11, v13, v10
	s_delay_alu instid0(VALU_DEP_1) | instskip(NEXT) | instid1(VALU_DEP_1)
	v_fma_f32 v9, -v9, v11, v12
	v_div_fmas_f32 v9, v9, v10, v11
	s_delay_alu instid0(VALU_DEP_1) | instskip(NEXT) | instid1(VALU_DEP_1)
	v_div_fixup_f32 v4, v9, v5, v4
	v_fma_f32 v4, v4, v4, 1.0
	s_delay_alu instid0(VALU_DEP_1) | instskip(SKIP_1) | instid1(VALU_DEP_2)
	v_mul_f32_e32 v9, 0x4f800000, v4
	v_cmp_gt_f32_e32 vcc_lo, 0xf800000, v4
	v_cndmask_b32_e32 v4, v4, v9, vcc_lo
	s_delay_alu instid0(VALU_DEP_1) | instskip(SKIP_1) | instid1(TRANS32_DEP_1)
	v_sqrt_f32_e32 v9, v4
	v_nop
	v_dual_add_nc_u32 v10, -1, v9 :: v_dual_add_nc_u32 v11, 1, v9
	s_delay_alu instid0(VALU_DEP_1) | instskip(NEXT) | instid1(VALU_DEP_1)
	v_fma_f32 v12, -v10, v9, v4
	v_cmp_ge_f32_e64 s1, 0, v12
	s_delay_alu instid0(VALU_DEP_1) | instskip(NEXT) | instid1(VALU_DEP_1)
	v_dual_fma_f32 v13, -v11, v9, v4 :: v_dual_cndmask_b32 v9, v9, v10, s1
	v_cmp_lt_f32_e64 s1, 0, v13
	s_delay_alu instid0(VALU_DEP_1) | instskip(NEXT) | instid1(VALU_DEP_1)
	v_cndmask_b32_e64 v9, v9, v11, s1
	v_mul_f32_e32 v10, 0x37800000, v9
	s_delay_alu instid0(VALU_DEP_1) | instskip(SKIP_1) | instid1(VALU_DEP_2)
	v_cndmask_b32_e32 v9, v9, v10, vcc_lo
	v_cmp_class_f32_e64 vcc_lo, v4, 0x260
	v_cndmask_b32_e32 v4, v9, v4, vcc_lo
	s_delay_alu instid0(VALU_DEP_1)
	v_mul_f32_e32 v9, v5, v4
.LBB20_87:                              ;   in Loop: Header=BB20_81 Depth=1
	s_or_b32 exec_lo, exec_lo, s23
                                        ; implicit-def: $vgpr4
                                        ; implicit-def: $vgpr5
.LBB20_88:                              ;   in Loop: Header=BB20_81 Depth=1
	s_and_not1_saveexec_b32 s22, s22
	s_cbranch_execz .LBB20_90
; %bb.89:                               ;   in Loop: Header=BB20_81 Depth=1
	v_div_scale_f32 v9, null, v4, v4, v5
	v_div_scale_f32 v12, vcc_lo, v5, v4, v5
	s_delay_alu instid0(VALU_DEP_2) | instskip(SKIP_1) | instid1(TRANS32_DEP_1)
	v_rcp_f32_e32 v10, v9
	v_nop
	v_fma_f32 v11, -v9, v10, 1.0
	s_delay_alu instid0(VALU_DEP_1) | instskip(NEXT) | instid1(VALU_DEP_1)
	v_fmac_f32_e32 v10, v11, v10
	v_mul_f32_e32 v11, v12, v10
	s_delay_alu instid0(VALU_DEP_1) | instskip(NEXT) | instid1(VALU_DEP_1)
	v_fma_f32 v13, -v9, v11, v12
	v_fmac_f32_e32 v11, v13, v10
	s_delay_alu instid0(VALU_DEP_1) | instskip(NEXT) | instid1(VALU_DEP_1)
	v_fma_f32 v9, -v9, v11, v12
	v_div_fmas_f32 v9, v9, v10, v11
	s_delay_alu instid0(VALU_DEP_1) | instskip(NEXT) | instid1(VALU_DEP_1)
	v_div_fixup_f32 v5, v9, v4, v5
	v_fma_f32 v5, v5, v5, 1.0
	s_delay_alu instid0(VALU_DEP_1) | instskip(SKIP_1) | instid1(VALU_DEP_2)
	v_mul_f32_e32 v9, 0x4f800000, v5
	v_cmp_gt_f32_e32 vcc_lo, 0xf800000, v5
	v_cndmask_b32_e32 v5, v5, v9, vcc_lo
	s_delay_alu instid0(VALU_DEP_1) | instskip(SKIP_1) | instid1(TRANS32_DEP_1)
	v_sqrt_f32_e32 v9, v5
	v_nop
	v_dual_add_nc_u32 v10, -1, v9 :: v_dual_add_nc_u32 v11, 1, v9
	s_delay_alu instid0(VALU_DEP_1) | instskip(NEXT) | instid1(VALU_DEP_1)
	v_fma_f32 v12, -v10, v9, v5
	v_cmp_ge_f32_e64 s1, 0, v12
	s_delay_alu instid0(VALU_DEP_1) | instskip(NEXT) | instid1(VALU_DEP_1)
	v_dual_fma_f32 v13, -v11, v9, v5 :: v_dual_cndmask_b32 v9, v9, v10, s1
	v_cmp_lt_f32_e64 s1, 0, v13
	s_delay_alu instid0(VALU_DEP_1) | instskip(NEXT) | instid1(VALU_DEP_1)
	v_cndmask_b32_e64 v9, v9, v11, s1
	v_mul_f32_e32 v10, 0x37800000, v9
	s_delay_alu instid0(VALU_DEP_1) | instskip(SKIP_1) | instid1(VALU_DEP_2)
	v_cndmask_b32_e32 v9, v9, v10, vcc_lo
	v_cmp_class_f32_e64 vcc_lo, v5, 0x260
	v_cndmask_b32_e32 v5, v9, v5, vcc_lo
	s_delay_alu instid0(VALU_DEP_1)
	v_mul_f32_e32 v9, v4, v5
.LBB20_90:                              ;   in Loop: Header=BB20_81 Depth=1
	s_or_b32 exec_lo, exec_lo, s22
	s_delay_alu instid0(VALU_DEP_1) | instskip(NEXT) | instid1(VALU_DEP_1)
	v_cvt_f64_f32_e32 v[4:5], v9
	v_cmp_ge_f64_e32 vcc_lo, v[0:1], v[4:5]
	v_cndmask_b32_e64 v4, v7, s27, vcc_lo
	v_cndmask_b32_e64 v5, v6, s26, vcc_lo
	s_and_saveexec_b32 s1, s0
	s_cbranch_execz .LBB20_92
; %bb.91:                               ;   in Loop: Header=BB20_81 Depth=1
	s_delay_alu instid0(VALU_DEP_1) | instskip(SKIP_1) | instid1(VALU_DEP_2)
	v_dual_mov_b32 v10, v5 :: v_dual_ashrrev_i32 v9, 31, v8
	v_mov_b32_e32 v11, v4
	v_lshl_add_u64 v[8:9], v[8:9], 3, s[12:13]
	global_store_b64 v[8:9], v[10:11], off
.LBB20_92:                              ;   in Loop: Header=BB20_81 Depth=1
	s_wait_xcnt 0x0
	s_or_b32 exec_lo, exec_lo, s1
	s_mov_b32 s1, -1
	s_branch .LBB20_83
.LBB20_93:                              ;   in Loop: Header=BB20_81 Depth=1
	s_wait_loadcnt 0x0
	v_bitop3_b32 v4, v6, 0x7fffffff, v7 bitop3:0xc8
	s_and_not1_b32 s1, s1, exec_lo
	s_mov_b32 s17, -1
	v_mov_b32_e32 v5, v6
	s_delay_alu instid0(VALU_DEP_2) | instskip(SKIP_2) | instid1(SALU_CYCLE_1)
	v_cmp_ne_u32_e32 vcc_lo, 0, v4
	v_mov_b32_e32 v4, v7
	s_and_b32 s22, vcc_lo, exec_lo
	s_or_b32 s1, s1, s22
                                        ; implicit-def: $vgpr27
	s_wait_xcnt 0x0
	s_and_saveexec_b32 s22, s1
	s_delay_alu instid0(SALU_CYCLE_1)
	s_xor_b32 s22, exec_lo, s22
	s_cbranch_execz .LBB20_115
.LBB20_94:                              ;   in Loop: Header=BB20_81 Depth=1
	v_add_nc_u32_e32 v27, 1, v21
	s_mov_b32 s23, exec_lo
	s_delay_alu instid0(VALU_DEP_1) | instskip(NEXT) | instid1(VALU_DEP_1)
	v_add_nc_u32_e32 v28, v27, v22
	v_cmpx_gt_i32_e64 s7, v28
	s_cbranch_execz .LBB20_114
; %bb.95:                               ;   in Loop: Header=BB20_81 Depth=1
	s_wait_loadcnt 0x0
	v_mul_f32_e32 v6, v4, v4
	v_cmp_gt_i32_e64 s1, s7, v27
	s_mov_b32 s25, 0
	v_dual_mov_b32 v29, v20 :: v_dual_fmac_f32 v6, v5, v5
	s_delay_alu instid0(VALU_DEP_1) | instskip(SKIP_1) | instid1(VALU_DEP_2)
	v_div_scale_f32 v7, null, v6, v6, 1.0
	v_div_scale_f32 v10, vcc_lo, 1.0, v6, 1.0
	v_rcp_f32_e32 v8, v7
	v_nop
	s_delay_alu instid0(TRANS32_DEP_1) | instskip(NEXT) | instid1(VALU_DEP_1)
	v_fma_f32 v9, -v7, v8, 1.0
	v_fmac_f32_e32 v8, v9, v8
	s_delay_alu instid0(VALU_DEP_1) | instskip(NEXT) | instid1(VALU_DEP_1)
	v_mul_f32_e32 v9, v10, v8
	v_fma_f32 v11, -v7, v9, v10
	s_delay_alu instid0(VALU_DEP_1) | instskip(NEXT) | instid1(VALU_DEP_1)
	v_fmac_f32_e32 v9, v11, v8
	v_fma_f32 v7, -v7, v9, v10
	s_delay_alu instid0(VALU_DEP_1) | instskip(SKIP_2) | instid1(VALU_DEP_3)
	v_div_fmas_f32 v7, v7, v8, v9
	v_dual_mov_b32 v8, v4 :: v_dual_mov_b32 v9, v4
	v_mov_b32_e32 v4, v5
	v_div_fixup_f32 v6, v7, v6, 1.0
	s_delay_alu instid0(VALU_DEP_1)
	v_mov_b32_e32 v7, v6
	s_branch .LBB20_97
.LBB20_96:                              ;   in Loop: Header=BB20_97 Depth=2
	s_wait_xcnt 0x0
	s_or_b32 exec_lo, exec_lo, s28
	v_dual_add_nc_u32 v28, 64, v28 :: v_dual_add_nc_u32 v29, s11, v29
	s_delay_alu instid0(VALU_DEP_1) | instskip(SKIP_1) | instid1(SALU_CYCLE_1)
	v_cmp_le_i32_e32 vcc_lo, s7, v28
	s_or_b32 s25, vcc_lo, s25
	s_and_not1_b32 exec_lo, exec_lo, s25
	s_cbranch_execz .LBB20_114
.LBB20_97:                              ;   Parent Loop BB20_81 Depth=1
                                        ; =>  This Loop Header: Depth=2
                                        ;       Child Loop BB20_106 Depth 3
	v_add_nc_u32_e32 v12, v28, v26
	s_and_b32 vcc_lo, exec_lo, s9
	s_cbranch_vccz .LBB20_112
; %bb.98:                               ;   in Loop: Header=BB20_97 Depth=2
	v_add_nc_u32_e32 v10, v28, v26
	s_cbranch_execnz .LBB20_100
.LBB20_99:                              ;   in Loop: Header=BB20_97 Depth=2
	v_add_nc_u32_e32 v10, v28, v18
	s_delay_alu instid0(VALU_DEP_1)
	v_mad_u32 v10, v10, s7, v21
.LBB20_100:                             ;   in Loop: Header=BB20_97 Depth=2
	global_load_b64 v[10:11], v10, s[12:13] scale_offset
	s_and_b32 vcc_lo, exec_lo, s9
	s_cbranch_vccz .LBB20_113
; %bb.101:                              ;   in Loop: Header=BB20_97 Depth=2
	s_cbranch_execnz .LBB20_103
.LBB20_102:                             ;   in Loop: Header=BB20_97 Depth=2
	v_add_nc_u32_e32 v12, v28, v18
	s_delay_alu instid0(VALU_DEP_1)
	v_mad_u32 v12, v12, s7, v21
.LBB20_103:                             ;   in Loop: Header=BB20_97 Depth=2
	s_wait_loadcnt 0x0
	v_pk_mul_f32 v[14:15], v[8:9], v[10:11] op_sel:[0,1] op_sel_hi:[1,0] neg_hi:[0,1]
	s_wait_xcnt 0x0
	s_delay_alu instid0(VALU_DEP_1) | instskip(NEXT) | instid1(VALU_DEP_1)
	v_pk_fma_f32 v[10:11], v[10:11], v[4:5], v[14:15]
	v_pk_mul_f32 v[10:11], v[6:7], v[10:11]
	global_store_b64 v12, v[10:11], s[12:13] scale_offset
	s_wait_xcnt 0x0
	s_and_saveexec_b32 s28, s1
	s_cbranch_execz .LBB20_96
; %bb.104:                              ;   in Loop: Header=BB20_97 Depth=2
	v_xor_b32_e32 v13, 0x80000000, v10
	v_dual_mov_b32 v12, v11 :: v_dual_mov_b32 v30, v29
	v_dual_mov_b32 v31, v19 :: v_dual_mov_b32 v32, v27
	s_mov_b32 s29, s14
	s_branch .LBB20_106
.LBB20_105:                             ;   in Loop: Header=BB20_106 Depth=3
	s_wait_loadcnt 0x0
	v_pk_fma_f32 v[16:17], v[10:11], v[14:15], v[16:17] op_sel_hi:[1,0,1] neg_lo:[1,0,0] neg_hi:[1,0,0]
	v_dual_add_nc_u32 v32, 1, v32 :: v_dual_add_nc_u32 v31, 1, v31
	v_add_nc_u32_e32 v30, 1, v30
	s_add_co_i32 s29, s29, -1
	s_delay_alu instid0(VALU_DEP_3)
	v_pk_fma_f32 v[14:15], v[12:13], v[14:15], v[16:17] op_sel:[0,1,0]
	s_cmp_eq_u32 s29, 0
	global_store_b64 v34, v[14:15], s[12:13] scale_offset
	s_cbranch_scc1 .LBB20_96
.LBB20_106:                             ;   Parent Loop BB20_81 Depth=1
                                        ;     Parent Loop BB20_97 Depth=2
                                        ; =>    This Inner Loop Header: Depth=3
	s_wait_xcnt 0x0
	s_delay_alu instid0(VALU_DEP_1)
	v_dual_add_nc_u32 v16, v32, v18 :: v_dual_mov_b32 v14, v31
	s_and_not1_b32 vcc_lo, exec_lo, s9
	s_cbranch_vccnz .LBB20_108
; %bb.107:                              ;   in Loop: Header=BB20_106 Depth=3
	s_delay_alu instid0(VALU_DEP_1)
	v_mad_u32 v14, v16, s7, v21
.LBB20_108:                             ;   in Loop: Header=BB20_106 Depth=3
	global_load_b64 v[14:15], v14, s[12:13] scale_offset
	v_mad_u32 v33, v16, s7, v28
	v_mov_b32_e32 v17, v30
	s_and_not1_b32 vcc_lo, exec_lo, s9
	s_cbranch_vccnz .LBB20_110
; %bb.109:                              ;   in Loop: Header=BB20_106 Depth=3
	v_mad_u32 v17, v16, s7, v28
.LBB20_110:                             ;   in Loop: Header=BB20_106 Depth=3
	global_load_b64 v[16:17], v17, s[12:13] scale_offset
	v_mov_b32_e32 v34, v30
	s_and_not1_b32 vcc_lo, exec_lo, s9
	s_cbranch_vccnz .LBB20_105
; %bb.111:                              ;   in Loop: Header=BB20_106 Depth=3
	v_mov_b32_e32 v34, v33
	s_branch .LBB20_105
.LBB20_112:                             ;   in Loop: Header=BB20_97 Depth=2
                                        ; implicit-def: $vgpr10
	s_branch .LBB20_99
.LBB20_113:                             ;   in Loop: Header=BB20_97 Depth=2
                                        ; implicit-def: $vgpr12
	s_branch .LBB20_102
.LBB20_114:                             ;   in Loop: Header=BB20_81 Depth=1
	s_or_b32 exec_lo, exec_lo, s23
	s_delay_alu instid0(SALU_CYCLE_1)
	s_and_not1_b32 s17, s17, exec_lo
.LBB20_115:                             ;   in Loop: Header=BB20_81 Depth=1
	s_or_b32 exec_lo, exec_lo, s22
	s_delay_alu instid0(SALU_CYCLE_1) | instskip(SKIP_1) | instid1(SALU_CYCLE_1)
	s_and_not1_b32 s1, s16, exec_lo
	s_and_b32 s16, s16, exec_lo
	s_or_b32 s16, s1, s16
	s_and_saveexec_b32 s1, s17
	s_cbranch_execz .LBB20_80
; %bb.116:                              ;   in Loop: Header=BB20_81 Depth=1
	v_add_nc_u32_e32 v27, 1, v21
	s_or_b32 s16, s16, exec_lo
	s_branch .LBB20_80
.LBB20_117:
	s_or_b32 exec_lo, exec_lo, s8
	s_delay_alu instid0(SALU_CYCLE_1) | instskip(SKIP_1) | instid1(SALU_CYCLE_1)
	s_and_not1_b32 s0, s2, exec_lo
	s_and_b32 s1, s15, exec_lo
	s_or_b32 s2, s0, s1
.LBB20_118:
	s_or_b32 exec_lo, exec_lo, s4
	s_wait_dscnt 0x0
	v_add_nc_u32_e32 v8, 1, v25
	s_mov_b32 s1, exec_lo
	s_delay_alu instid0(VALU_DEP_1)
	v_cmpx_lt_i32_e64 v8, v23
	s_cbranch_execz .LBB20_142
; %bb.119:
	v_mul_lo_u32 v9, v25, s7
	s_mul_i32 s4, s7, s7
	v_cmp_gt_i32_e64 s0, s7, v22
	v_mul_lo_u32 v0, s4, v8
	s_cmp_lg_u32 s24, 0
	s_mov_b32 s8, 0
	s_cselect_b32 s9, -1, 0
	s_add_co_i32 s10, s7, 1
	s_add_co_i32 s11, s7, -1
	v_mad_u32 v10, s7, v9, s7
	s_delay_alu instid0(VALU_DEP_2)
	v_add3_u32 v11, v0, s7, v22
	s_branch .LBB20_121
.LBB20_120:                             ;   in Loop: Header=BB20_121 Depth=1
	s_delay_alu instid0(VALU_DEP_1) | instskip(NEXT) | instid1(VALU_DEP_1)
	v_dual_add_nc_u32 v8, 1, v8 :: v_dual_add_nc_u32 v11, s4, v11
	v_cmp_ge_i32_e32 vcc_lo, v8, v23
	s_or_b32 s8, vcc_lo, s8
	s_delay_alu instid0(SALU_CYCLE_1)
	s_and_not1_b32 exec_lo, exec_lo, s8
	s_cbranch_execz .LBB20_142
.LBB20_121:                             ; =>This Loop Header: Depth=1
                                        ;     Child Loop BB20_124 Depth 2
                                        ;       Child Loop BB20_127 Depth 3
                                        ;         Child Loop BB20_130 Depth 4
	s_and_not1_b32 vcc_lo, exec_lo, s3
	s_cbranch_vccnz .LBB20_120
; %bb.122:                              ;   in Loop: Header=BB20_121 Depth=1
	v_mul_lo_u32 v12, v8, s7
	s_delay_alu instid0(VALU_DEP_3)
	v_dual_mov_b32 v13, v11 :: v_dual_mov_b32 v14, v10
	s_mov_b32 s15, 0
	s_mov_b32 s14, s11
	s_branch .LBB20_124
.LBB20_123:                             ;   in Loop: Header=BB20_124 Depth=2
	s_or_b32 exec_lo, exec_lo, s17
	v_dual_add_nc_u32 v14, s10, v14 :: v_dual_add_nc_u32 v13, s7, v13
	s_add_co_i32 s14, s14, -1
	s_cmp_eq_u32 s16, s7
	s_mov_b32 s15, s16
	s_cbranch_scc1 .LBB20_120
.LBB20_124:                             ;   Parent Loop BB20_121 Depth=1
                                        ; =>  This Loop Header: Depth=2
                                        ;       Child Loop BB20_127 Depth 3
                                        ;         Child Loop BB20_130 Depth 4
	s_add_co_i32 s16, s15, 1
	s_and_saveexec_b32 s17, s0
	s_cbranch_execz .LBB20_123
; %bb.125:                              ;   in Loop: Header=BB20_124 Depth=2
	s_delay_alu instid0(VALU_DEP_2) | instskip(SKIP_2) | instid1(VALU_DEP_2)
	v_dual_add_nc_u32 v0, s15, v9 :: v_dual_add_nc_u32 v1, s15, v12
	v_dual_mov_b32 v17, v13 :: v_dual_mov_b32 v18, v22
	s_cmp_lt_i32 s16, s7
	v_mul_lo_u32 v15, v0, s7
	s_delay_alu instid0(VALU_DEP_3)
	v_mul_lo_u32 v16, v1, s7
	s_cselect_b32 s22, -1, 0
	s_mov_b32 s23, 0
	s_branch .LBB20_127
.LBB20_126:                             ;   in Loop: Header=BB20_127 Depth=3
	v_dual_add_nc_u32 v18, 64, v18 :: v_dual_add_nc_u32 v17, 64, v17
	s_delay_alu instid0(VALU_DEP_1)
	v_cmp_le_i32_e32 vcc_lo, s7, v18
	s_or_b32 s23, vcc_lo, s23
	s_wait_xcnt 0x0
	s_and_not1_b32 exec_lo, exec_lo, s23
	s_cbranch_execz .LBB20_123
.LBB20_127:                             ;   Parent Loop BB20_121 Depth=1
                                        ;     Parent Loop BB20_124 Depth=2
                                        ; =>    This Loop Header: Depth=3
                                        ;         Child Loop BB20_130 Depth 4
	s_and_not1_b32 vcc_lo, exec_lo, s22
	s_cbranch_vccnz .LBB20_126
; %bb.128:                              ;   in Loop: Header=BB20_127 Depth=3
	v_add_nc_u32_e32 v0, v18, v12
	s_delay_alu instid0(VALU_DEP_2) | instskip(SKIP_4) | instid1(VALU_DEP_1)
	v_add_nc_u32_e32 v21, v18, v16
	s_mov_b32 s24, 0
	s_mov_b32 s25, s14
	;; [unrolled: 1-line block ×3, first 2 shown]
	v_mul_lo_u32 v19, v0, s7
	v_add_nc_u32_e32 v20, s15, v19
	s_branch .LBB20_130
.LBB20_129:                             ;   in Loop: Header=BB20_130 Depth=4
	s_wait_loadcnt 0x0
	v_pk_fma_f32 v[6:7], v[0:1], v[4:5], v[6:7] op_sel_hi:[1,0,1] neg_lo:[1,0,0] neg_hi:[1,0,0]
	s_add_co_i32 s25, s25, -1
	s_add_co_i32 s26, s26, 1
	s_add_co_i32 s24, s24, s7
	s_cmp_eq_u32 s25, 0
	v_pk_fma_f32 v[0:1], v[0:1], v[4:5], v[6:7] op_sel:[1,1,0] op_sel_hi:[0,1,1] neg_hi:[1,0,0]
	global_store_b64 v24, v[0:1], s[12:13] scale_offset
	s_cbranch_scc1 .LBB20_126
.LBB20_130:                             ;   Parent Loop BB20_121 Depth=1
                                        ;     Parent Loop BB20_124 Depth=2
                                        ;       Parent Loop BB20_127 Depth=3
                                        ; =>      This Inner Loop Header: Depth=4
	s_and_b32 vcc_lo, exec_lo, s9
	s_cbranch_vccz .LBB20_138
; %bb.131:                              ;   in Loop: Header=BB20_130 Depth=4
	s_wait_loadcnt 0x0
	v_add_nc_u32_e32 v6, s26, v15
	v_mov_b32_e32 v7, v20
	s_cbranch_execnz .LBB20_133
.LBB20_132:                             ;   in Loop: Header=BB20_130 Depth=4
	v_dual_mov_b32 v7, v21 :: v_dual_add_nc_u32 v6, s24, v14
.LBB20_133:                             ;   in Loop: Header=BB20_130 Depth=4
	s_clause 0x1
	global_load_b64 v[0:1], v6, s[12:13] scale_offset
	global_load_b64 v[4:5], v7, s[12:13] scale_offset
	v_add_nc_u32_e32 v24, s26, v19
	s_and_b32 vcc_lo, exec_lo, s9
	s_cbranch_vccz .LBB20_139
; %bb.134:                              ;   in Loop: Header=BB20_130 Depth=4
	s_wait_xcnt 0x1
	v_add_nc_u32_e32 v6, s26, v19
	v_add_nc_u32_e32 v25, s24, v17
	s_cbranch_execnz .LBB20_136
.LBB20_135:                             ;   in Loop: Header=BB20_130 Depth=4
	s_wait_xcnt 0x1
	v_add_nc_u32_e32 v6, s24, v17
.LBB20_136:                             ;   in Loop: Header=BB20_130 Depth=4
	global_load_b64 v[6:7], v6, s[12:13] scale_offset
	s_and_b32 vcc_lo, exec_lo, s9
	s_cbranch_vccz .LBB20_140
; %bb.137:                              ;   in Loop: Header=BB20_130 Depth=4
	s_cbranch_execnz .LBB20_129
	s_branch .LBB20_141
.LBB20_138:                             ;   in Loop: Header=BB20_130 Depth=4
                                        ; implicit-def: $vgpr6
	s_wait_loadcnt 0x0
	v_mov_b32_e32 v7, v20
	s_branch .LBB20_132
.LBB20_139:                             ;   in Loop: Header=BB20_130 Depth=4
                                        ; implicit-def: $vgpr6
	v_add_nc_u32_e32 v25, s24, v17
	s_branch .LBB20_135
.LBB20_140:                             ;   in Loop: Header=BB20_130 Depth=4
                                        ; implicit-def: $vgpr24
.LBB20_141:                             ;   in Loop: Header=BB20_130 Depth=4
	v_mov_b32_e32 v24, v25
	s_branch .LBB20_129
.LBB20_142:
	s_or_b32 exec_lo, exec_lo, s1
	s_delay_alu instid0(SALU_CYCLE_1)
	s_or_not1_b32 s2, s2, exec_lo
.LBB20_143:
	s_or_b32 exec_lo, exec_lo, s5
	v_cmp_eq_u32_e32 vcc_lo, 0, v22
	s_and_b32 exec_lo, exec_lo, vcc_lo
	s_cbranch_execz .LBB20_149
; %bb.144:
	v_lshl_add_u64 v[0:1], v[2:3], 2, s[20:21]
	v_mov_b32_e32 v3, 1
	global_wb scope:SCOPE_DEV
	s_wait_storecnt 0x0
	s_wait_loadcnt_dscnt 0x0
	global_store_b32 v[0:1], v3, off scope:SCOPE_DEV
	s_wait_xcnt 0x0
	s_and_b32 exec_lo, exec_lo, s2
	s_cbranch_execz .LBB20_149
; %bb.145:
	v_add_nc_u32_e32 v0, s6, v2
	s_mov_b32 s1, exec_lo
	s_brev_b32 s0, -2
.LBB20_146:                             ; =>This Inner Loop Header: Depth=1
	s_ctz_i32_b32 s2, s1
	s_delay_alu instid0(VALU_DEP_1) | instid1(SALU_CYCLE_1)
	v_readlane_b32 s3, v0, s2
	s_lshl_b32 s2, 1, s2
	s_delay_alu instid0(SALU_CYCLE_1)
	s_and_not1_b32 s1, s1, s2
	s_min_i32 s0, s0, s3
	s_cmp_lg_u32 s1, 0
	s_cbranch_scc1 .LBB20_146
; %bb.147:
	v_mbcnt_lo_u32_b32 v0, exec_lo, 0
	s_mov_b32 s1, exec_lo
	s_delay_alu instid0(VALU_DEP_1)
	v_cmpx_eq_u32_e32 0, v0
	s_xor_b32 s1, exec_lo, s1
	s_cbranch_execz .LBB20_149
; %bb.148:
	v_dual_mov_b32 v0, 0 :: v_dual_mov_b32 v1, s0
	global_atomic_min_i32 v0, v1, s[18:19] scope:SCOPE_DEV
.LBB20_149:
	s_endpgm
	.section	.rodata,"a",@progbits
	.p2align	6, 0x0
	.amdhsa_kernel _ZN9rocsparseL15bsrilu0_generalILj128ELj64ELb0E21rocsparse_complex_numIfEEEv20rocsparse_direction_iPKiS5_PT2_S5_iPiS5_S8_21rocsparse_index_base_imNS_24const_host_device_scalarIfEENSA_IdEENSA_IS6_EEb
		.amdhsa_group_segment_fixed_size 0
		.amdhsa_private_segment_fixed_size 0
		.amdhsa_kernarg_size 116
		.amdhsa_user_sgpr_count 2
		.amdhsa_user_sgpr_dispatch_ptr 0
		.amdhsa_user_sgpr_queue_ptr 0
		.amdhsa_user_sgpr_kernarg_segment_ptr 1
		.amdhsa_user_sgpr_dispatch_id 0
		.amdhsa_user_sgpr_kernarg_preload_length 0
		.amdhsa_user_sgpr_kernarg_preload_offset 0
		.amdhsa_user_sgpr_private_segment_size 0
		.amdhsa_wavefront_size32 1
		.amdhsa_uses_dynamic_stack 0
		.amdhsa_enable_private_segment 0
		.amdhsa_system_sgpr_workgroup_id_x 1
		.amdhsa_system_sgpr_workgroup_id_y 0
		.amdhsa_system_sgpr_workgroup_id_z 0
		.amdhsa_system_sgpr_workgroup_info 0
		.amdhsa_system_vgpr_workitem_id 0
		.amdhsa_next_free_vgpr 44
		.amdhsa_next_free_sgpr 46
		.amdhsa_named_barrier_count 0
		.amdhsa_reserve_vcc 1
		.amdhsa_float_round_mode_32 0
		.amdhsa_float_round_mode_16_64 0
		.amdhsa_float_denorm_mode_32 3
		.amdhsa_float_denorm_mode_16_64 3
		.amdhsa_fp16_overflow 0
		.amdhsa_memory_ordered 1
		.amdhsa_forward_progress 1
		.amdhsa_inst_pref_size 38
		.amdhsa_round_robin_scheduling 0
		.amdhsa_exception_fp_ieee_invalid_op 0
		.amdhsa_exception_fp_denorm_src 0
		.amdhsa_exception_fp_ieee_div_zero 0
		.amdhsa_exception_fp_ieee_overflow 0
		.amdhsa_exception_fp_ieee_underflow 0
		.amdhsa_exception_fp_ieee_inexact 0
		.amdhsa_exception_int_div_zero 0
	.end_amdhsa_kernel
	.section	.text._ZN9rocsparseL15bsrilu0_generalILj128ELj64ELb0E21rocsparse_complex_numIfEEEv20rocsparse_direction_iPKiS5_PT2_S5_iPiS5_S8_21rocsparse_index_base_imNS_24const_host_device_scalarIfEENSA_IdEENSA_IS6_EEb,"axG",@progbits,_ZN9rocsparseL15bsrilu0_generalILj128ELj64ELb0E21rocsparse_complex_numIfEEEv20rocsparse_direction_iPKiS5_PT2_S5_iPiS5_S8_21rocsparse_index_base_imNS_24const_host_device_scalarIfEENSA_IdEENSA_IS6_EEb,comdat
.Lfunc_end20:
	.size	_ZN9rocsparseL15bsrilu0_generalILj128ELj64ELb0E21rocsparse_complex_numIfEEEv20rocsparse_direction_iPKiS5_PT2_S5_iPiS5_S8_21rocsparse_index_base_imNS_24const_host_device_scalarIfEENSA_IdEENSA_IS6_EEb, .Lfunc_end20-_ZN9rocsparseL15bsrilu0_generalILj128ELj64ELb0E21rocsparse_complex_numIfEEEv20rocsparse_direction_iPKiS5_PT2_S5_iPiS5_S8_21rocsparse_index_base_imNS_24const_host_device_scalarIfEENSA_IdEENSA_IS6_EEb
                                        ; -- End function
	.set _ZN9rocsparseL15bsrilu0_generalILj128ELj64ELb0E21rocsparse_complex_numIfEEEv20rocsparse_direction_iPKiS5_PT2_S5_iPiS5_S8_21rocsparse_index_base_imNS_24const_host_device_scalarIfEENSA_IdEENSA_IS6_EEb.num_vgpr, 44
	.set _ZN9rocsparseL15bsrilu0_generalILj128ELj64ELb0E21rocsparse_complex_numIfEEEv20rocsparse_direction_iPKiS5_PT2_S5_iPiS5_S8_21rocsparse_index_base_imNS_24const_host_device_scalarIfEENSA_IdEENSA_IS6_EEb.num_agpr, 0
	.set _ZN9rocsparseL15bsrilu0_generalILj128ELj64ELb0E21rocsparse_complex_numIfEEEv20rocsparse_direction_iPKiS5_PT2_S5_iPiS5_S8_21rocsparse_index_base_imNS_24const_host_device_scalarIfEENSA_IdEENSA_IS6_EEb.numbered_sgpr, 46
	.set _ZN9rocsparseL15bsrilu0_generalILj128ELj64ELb0E21rocsparse_complex_numIfEEEv20rocsparse_direction_iPKiS5_PT2_S5_iPiS5_S8_21rocsparse_index_base_imNS_24const_host_device_scalarIfEENSA_IdEENSA_IS6_EEb.num_named_barrier, 0
	.set _ZN9rocsparseL15bsrilu0_generalILj128ELj64ELb0E21rocsparse_complex_numIfEEEv20rocsparse_direction_iPKiS5_PT2_S5_iPiS5_S8_21rocsparse_index_base_imNS_24const_host_device_scalarIfEENSA_IdEENSA_IS6_EEb.private_seg_size, 0
	.set _ZN9rocsparseL15bsrilu0_generalILj128ELj64ELb0E21rocsparse_complex_numIfEEEv20rocsparse_direction_iPKiS5_PT2_S5_iPiS5_S8_21rocsparse_index_base_imNS_24const_host_device_scalarIfEENSA_IdEENSA_IS6_EEb.uses_vcc, 1
	.set _ZN9rocsparseL15bsrilu0_generalILj128ELj64ELb0E21rocsparse_complex_numIfEEEv20rocsparse_direction_iPKiS5_PT2_S5_iPiS5_S8_21rocsparse_index_base_imNS_24const_host_device_scalarIfEENSA_IdEENSA_IS6_EEb.uses_flat_scratch, 0
	.set _ZN9rocsparseL15bsrilu0_generalILj128ELj64ELb0E21rocsparse_complex_numIfEEEv20rocsparse_direction_iPKiS5_PT2_S5_iPiS5_S8_21rocsparse_index_base_imNS_24const_host_device_scalarIfEENSA_IdEENSA_IS6_EEb.has_dyn_sized_stack, 0
	.set _ZN9rocsparseL15bsrilu0_generalILj128ELj64ELb0E21rocsparse_complex_numIfEEEv20rocsparse_direction_iPKiS5_PT2_S5_iPiS5_S8_21rocsparse_index_base_imNS_24const_host_device_scalarIfEENSA_IdEENSA_IS6_EEb.has_recursion, 0
	.set _ZN9rocsparseL15bsrilu0_generalILj128ELj64ELb0E21rocsparse_complex_numIfEEEv20rocsparse_direction_iPKiS5_PT2_S5_iPiS5_S8_21rocsparse_index_base_imNS_24const_host_device_scalarIfEENSA_IdEENSA_IS6_EEb.has_indirect_call, 0
	.section	.AMDGPU.csdata,"",@progbits
; Kernel info:
; codeLenInByte = 4788
; TotalNumSgprs: 48
; NumVgprs: 44
; ScratchSize: 0
; MemoryBound: 0
; FloatMode: 240
; IeeeMode: 1
; LDSByteSize: 0 bytes/workgroup (compile time only)
; SGPRBlocks: 0
; VGPRBlocks: 2
; NumSGPRsForWavesPerEU: 48
; NumVGPRsForWavesPerEU: 44
; NamedBarCnt: 0
; Occupancy: 16
; WaveLimiterHint : 1
; COMPUTE_PGM_RSRC2:SCRATCH_EN: 0
; COMPUTE_PGM_RSRC2:USER_SGPR: 2
; COMPUTE_PGM_RSRC2:TRAP_HANDLER: 0
; COMPUTE_PGM_RSRC2:TGID_X_EN: 1
; COMPUTE_PGM_RSRC2:TGID_Y_EN: 0
; COMPUTE_PGM_RSRC2:TGID_Z_EN: 0
; COMPUTE_PGM_RSRC2:TIDIG_COMP_CNT: 0
	.section	.text._ZN9rocsparseL15bsrilu0_generalILj128ELj64ELb1E21rocsparse_complex_numIdEEEv20rocsparse_direction_iPKiS5_PT2_S5_iPiS5_S8_21rocsparse_index_base_imNS_24const_host_device_scalarIfEENSA_IdEENSA_IS6_EEb,"axG",@progbits,_ZN9rocsparseL15bsrilu0_generalILj128ELj64ELb1E21rocsparse_complex_numIdEEEv20rocsparse_direction_iPKiS5_PT2_S5_iPiS5_S8_21rocsparse_index_base_imNS_24const_host_device_scalarIfEENSA_IdEENSA_IS6_EEb,comdat
	.globl	_ZN9rocsparseL15bsrilu0_generalILj128ELj64ELb1E21rocsparse_complex_numIdEEEv20rocsparse_direction_iPKiS5_PT2_S5_iPiS5_S8_21rocsparse_index_base_imNS_24const_host_device_scalarIfEENSA_IdEENSA_IS6_EEb ; -- Begin function _ZN9rocsparseL15bsrilu0_generalILj128ELj64ELb1E21rocsparse_complex_numIdEEEv20rocsparse_direction_iPKiS5_PT2_S5_iPiS5_S8_21rocsparse_index_base_imNS_24const_host_device_scalarIfEENSA_IdEENSA_IS6_EEb
	.p2align	8
	.type	_ZN9rocsparseL15bsrilu0_generalILj128ELj64ELb1E21rocsparse_complex_numIdEEEv20rocsparse_direction_iPKiS5_PT2_S5_iPiS5_S8_21rocsparse_index_base_imNS_24const_host_device_scalarIfEENSA_IdEENSA_IS6_EEb,@function
_ZN9rocsparseL15bsrilu0_generalILj128ELj64ELb1E21rocsparse_complex_numIdEEEv20rocsparse_direction_iPKiS5_PT2_S5_iPiS5_S8_21rocsparse_index_base_imNS_24const_host_device_scalarIfEENSA_IdEENSA_IS6_EEb: ; @_ZN9rocsparseL15bsrilu0_generalILj128ELj64ELb1E21rocsparse_complex_numIdEEEv20rocsparse_direction_iPKiS5_PT2_S5_iPiS5_S8_21rocsparse_index_base_imNS_24const_host_device_scalarIfEENSA_IdEENSA_IS6_EEb
; %bb.0:
	s_clause 0x2
	s_load_b96 s[4:6], s[0:1], 0x70
	s_load_b64 s[24:25], s[0:1], 0x48
	s_load_b256 s[16:23], s[0:1], 0x50
	s_wait_kmcnt 0x0
	s_bitcmp1_b32 s6, 0
	s_cselect_b32 s2, -1, 0
	s_cmp_eq_u32 s25, 0
	v_mov_b64_e32 v[2:3], s[22:23]
	s_cselect_b32 s6, -1, 0
	s_cmp_lg_u32 s25, 0
	s_cselect_b32 s3, -1, 0
	s_or_b32 s9, s6, s2
	s_delay_alu instid0(SALU_CYCLE_1)
	s_xor_b32 s8, s9, -1
	s_and_b32 s6, s6, exec_lo
	s_cselect_b32 s7, 0, s21
	s_cselect_b32 s6, 0, s20
	;; [unrolled: 1-line block ×3, first 2 shown]
	s_and_b32 vcc_lo, exec_lo, s9
	scratch_store_b64 off, v[2:3], off offset:32
	s_cbranch_vccnz .LBB21_2
; %bb.1:
	s_load_b32 s25, s[18:19], 0x0
	s_mov_b64 s[6:7], s[20:21]
.LBB21_2:
	s_delay_alu instid0(SALU_CYCLE_1)
	v_mov_b64_e32 v[18:19], s[6:7]
	s_and_not1_b32 vcc_lo, exec_lo, s8
	s_cbranch_vccnz .LBB21_4
; %bb.3:
	v_mov_b32_e32 v1, 0
	flat_load_b64 v[18:19], v1, s[20:21]
.LBB21_4:
	s_wait_xcnt 0x0
	v_mov_b64_e32 v[2:3], 0
	v_mov_b64_e32 v[4:5], 0
	v_cndmask_b32_e64 v28, 0, 1, s3
	s_and_not1_b32 vcc_lo, exec_lo, s3
	s_cbranch_vccnz .LBB21_7
; %bb.5:
	v_mbcnt_lo_u32_b32 v1, -1, 0
	v_mov_b32_e32 v2, 32
	v_mov_b64_e32 v[4:5], s[4:5]
	s_delay_alu instid0(VALU_DEP_3) | instskip(NEXT) | instid1(VALU_DEP_1)
	v_lshlrev_b32_e32 v3, 20, v1
	v_add_nc_u64_e32 v[2:3], src_flat_scratch_base_lo, v[2:3]
	s_delay_alu instid0(VALU_DEP_1) | instskip(NEXT) | instid1(VALU_DEP_2)
	v_cndmask_b32_e64 v3, s23, v3, s2
	v_cndmask_b32_e64 v2, s22, v2, s2
	s_xor_b32 s2, s2, -1
	s_delay_alu instid0(SALU_CYCLE_1)
	s_and_not1_b32 vcc_lo, exec_lo, s2
	flat_load_b64 v[2:3], v[2:3]
	s_cbranch_vccnz .LBB21_7
; %bb.6:
	v_mov_b32_e32 v1, 0
	flat_load_b64 v[4:5], v1, s[22:23] offset:8
.LBB21_7:
	s_load_b64 s[18:19], s[0:1], 0x0
	s_bfe_u32 s2, ttmp6, 0x4000c
	s_and_b32 s3, ttmp6, 15
	s_add_co_i32 s2, s2, 1
	s_getreg_b32 s4, hwreg(HW_REG_IB_STS2, 6, 4)
	s_mul_i32 s2, ttmp9, s2
	v_lshrrev_b32_e32 v1, 6, v0
	s_add_co_i32 s3, s3, s2
	s_cmp_eq_u32 s4, 0
	s_wait_loadcnt_dscnt 0x0
	scratch_store_b128 off, v[2:5], off
	s_cselect_b32 s2, ttmp9, s3
	s_delay_alu instid0(SALU_CYCLE_1) | instskip(NEXT) | instid1(SALU_CYCLE_1)
	s_lshl_b32 s2, s2, 1
	v_and_or_b32 v1, 0x3fffffe, s2, v1
	s_mov_b32 s2, exec_lo
	s_wait_kmcnt 0x0
	s_delay_alu instid0(VALU_DEP_1)
	v_cmpx_gt_i32_e64 s19, v1
	s_cbranch_execz .LBB21_148
; %bb.8:
	s_clause 0x2
	s_load_b128 s[20:23], s[0:1], 0x30
	s_load_b64 s[6:7], s[0:1], 0x40
	s_load_b256 s[8:15], s[0:1], 0x8
	v_and_b32_e32 v26, 63, v0
	s_mov_b32 s2, -1
	s_mov_b32 s5, exec_lo
	s_wait_kmcnt 0x0
	global_load_b32 v16, v1, s[22:23] scale_offset
	s_wait_loadcnt 0x0
	global_load_b32 v29, v16, s[14:15] scale_offset
	v_ashrrev_i32_e32 v17, 31, v16
	s_wait_loadcnt 0x0
	v_cmpx_ne_u32_e32 -1, v29
	s_cbranch_execz .LBB21_142
; %bb.9:
	s_delay_alu instid0(VALU_DEP_2)
	v_lshl_add_u64 v[0:1], v[16:17], 2, s[8:9]
	s_load_b32 s22, s[0:1], 0x28
	s_mov_b32 s2, 0
	s_mov_b32 s23, exec_lo
	global_load_b64 v[0:1], v[0:1], off
	s_wait_loadcnt 0x0
	v_subrev_nc_u32_e32 v30, s24, v0
	v_subrev_nc_u32_e32 v27, s24, v1
	s_wait_xcnt 0x0
	s_delay_alu instid0(VALU_DEP_2)
	v_cmpx_lt_i32_e64 v30, v29
	s_cbranch_execz .LBB21_77
; %bb.10:
	s_wait_kmcnt 0x0
	v_mad_u32 v0, s22, v30, v26
	s_cmp_gt_i32 s22, 0
	v_cmp_gt_i32_e64 s0, s22, v26
	v_cmp_le_i32_e64 s1, s22, v26
	s_cselect_b32 s27, -1, 0
	s_cmp_lg_u32 s18, 0
	s_mov_b32 s34, 0
	s_mul_i32 s26, s22, s22
	s_cselect_b32 s28, -1, 0
	s_add_co_i32 s19, s19, 1
	s_add_co_i32 s29, s22, 1
	v_mul_lo_u32 v31, s22, v0
	v_add_nc_u32_e32 v20, v30, v26
	s_lshl_b32 s30, s22, 6
	s_add_co_i32 s31, s22, -1
	s_mov_b32 s33, 0
                                        ; implicit-def: $sgpr35
                                        ; implicit-def: $sgpr36
	s_delay_alu instid0(VALU_DEP_1) | instskip(NEXT) | instid1(VALU_DEP_1)
	v_ashrrev_i32_e32 v21, 31, v20
	v_lshl_add_u64 v[22:23], v[20:21], 2, s[10:11]
	s_delay_alu instid0(VALU_DEP_4)
	v_add_nc_u32_e32 v21, 1, v31
	v_cmp_lt_i32_e64 s2, v20, v27
	s_branch .LBB21_13
.LBB21_11:                              ;   in Loop: Header=BB21_13 Depth=1
	s_or_b32 exec_lo, exec_lo, s4
	s_delay_alu instid0(SALU_CYCLE_1) | instskip(SKIP_1) | instid1(SALU_CYCLE_1)
	s_and_not1_b32 s4, s36, exec_lo
	s_and_b32 s34, s34, exec_lo
	s_or_b32 s36, s4, s34
.LBB21_12:                              ;   in Loop: Header=BB21_13 Depth=1
	s_or_b32 exec_lo, exec_lo, s37
	v_dual_add_nc_u32 v30, 1, v30 :: v_dual_add_nc_u32 v21, s26, v21
	s_xor_b32 s3, s3, -1
	v_add_nc_u32_e32 v31, s26, v31
	s_mov_b32 s34, s36
	s_delay_alu instid0(VALU_DEP_2) | instskip(SKIP_1) | instid1(SALU_CYCLE_1)
	v_cmp_ge_i32_e32 vcc_lo, v30, v29
	s_or_b32 s3, s3, vcc_lo
	s_and_b32 s3, exec_lo, s3
	s_delay_alu instid0(SALU_CYCLE_1) | instskip(SKIP_2) | instid1(SALU_CYCLE_1)
	s_or_b32 s33, s3, s33
	s_and_not1_b32 s3, s35, exec_lo
	s_and_b32 s4, s36, exec_lo
	s_or_b32 s35, s3, s4
	s_and_not1_b32 exec_lo, exec_lo, s33
	s_cbranch_execz .LBB21_76
.LBB21_13:                              ; =>This Loop Header: Depth=1
                                        ;     Child Loop BB21_17 Depth 2
                                        ;       Child Loop BB21_18 Depth 3
                                        ;     Child Loop BB21_23 Depth 2
                                        ;       Child Loop BB21_28 Depth 3
                                        ;         Child Loop BB21_37 Depth 4
                                        ;     Child Loop BB21_50 Depth 2
                                        ;       Child Loop BB21_55 Depth 3
                                        ;       Child Loop BB21_62 Depth 3
                                        ;         Child Loop BB21_64 Depth 4
                                        ;           Child Loop BB21_66 Depth 5
	s_wait_dscnt 0x0
	global_load_b32 v0, v30, s[10:11] scale_offset
	s_or_b32 s36, s36, exec_lo
	s_wait_loadcnt 0x0
	v_subrev_nc_u32_e32 v0, s24, v0
	global_load_b32 v33, v0, s[14:15] scale_offset
	s_wait_loadcnt 0x0
	v_cmp_ne_u32_e64 s3, -1, v33
	s_wait_xcnt 0x0
	s_and_saveexec_b32 s37, s3
	s_cbranch_execz .LBB21_12
; %bb.14:                               ;   in Loop: Header=BB21_13 Depth=1
	v_ashrrev_i32_e32 v1, 31, v0
	s_mov_b32 s4, exec_lo
	s_delay_alu instid0(VALU_DEP_1) | instskip(NEXT) | instid1(VALU_DEP_1)
	v_lshlrev_b64_e32 v[0:1], 2, v[0:1]
	v_add_nc_u64_e32 v[2:3], s[8:9], v[0:1]
	v_add_nc_u64_e32 v[0:1], s[20:21], v[0:1]
	global_load_b32 v34, v[2:3], off offset:4
	global_load_b32 v4, v[0:1], off scope:SCOPE_DEV
	s_wait_loadcnt 0x0
	s_wait_xcnt 0x0
	v_cmpx_eq_u32_e32 0, v4
	s_cbranch_execz .LBB21_19
; %bb.15:                               ;   in Loop: Header=BB21_13 Depth=1
	s_mov_b32 s38, 0
	s_mov_b32 s39, 0
	s_branch .LBB21_17
.LBB21_16:                              ;   in Loop: Header=BB21_17 Depth=2
	global_load_b32 v2, v[0:1], off scope:SCOPE_DEV
	s_cmp_lt_u32 s39, 0xf43
	s_cselect_b32 s40, -1, 0
	s_delay_alu instid0(SALU_CYCLE_1)
	s_cmp_lg_u32 s40, 0
	s_add_co_ci_u32 s39, s39, 0
	s_wait_loadcnt 0x0
	v_cmp_ne_u32_e32 vcc_lo, 0, v2
	s_or_b32 s38, vcc_lo, s38
	s_wait_xcnt 0x0
	s_and_not1_b32 exec_lo, exec_lo, s38
	s_cbranch_execz .LBB21_19
.LBB21_17:                              ;   Parent Loop BB21_13 Depth=1
                                        ; =>  This Loop Header: Depth=2
                                        ;       Child Loop BB21_18 Depth 3
	s_cmp_eq_u32 s39, 0
	s_mov_b32 s40, s39
	s_cbranch_scc1 .LBB21_16
.LBB21_18:                              ;   Parent Loop BB21_13 Depth=1
                                        ;     Parent Loop BB21_17 Depth=2
                                        ; =>    This Inner Loop Header: Depth=3
	s_add_co_i32 s40, s40, -1
	s_sleep 1
	s_cmp_eq_u32 s40, 0
	s_cbranch_scc0 .LBB21_18
	s_branch .LBB21_16
.LBB21_19:                              ;   in Loop: Header=BB21_13 Depth=1
	s_or_b32 exec_lo, exec_lo, s4
	v_mul_lo_u32 v32, v30, s22
	s_and_not1_b32 vcc_lo, exec_lo, s27
	s_wait_storecnt 0x0
	global_inv scope:SCOPE_DEV
	s_cbranch_vccnz .LBB21_46
; %bb.20:                               ;   in Loop: Header=BB21_13 Depth=1
	v_mul_lo_u32 v35, v33, s22
	v_mad_u32 v36, s26, v33, 1
	v_dual_mov_b32 v37, 0 :: v_dual_mov_b32 v38, v21
	s_mov_b32 s38, 0
	s_mov_b32 s39, s31
	s_branch .LBB21_23
.LBB21_21:                              ;   in Loop: Header=BB21_23 Depth=2
	s_or_b32 exec_lo, exec_lo, s41
	v_mov_b32_e32 v37, v39
.LBB21_22:                              ;   in Loop: Header=BB21_23 Depth=2
	s_or_b32 exec_lo, exec_lo, s40
	s_delay_alu instid0(VALU_DEP_1) | instskip(SKIP_3) | instid1(SALU_CYCLE_1)
	v_cmp_eq_u32_e32 vcc_lo, s22, v37
	v_dual_add_nc_u32 v36, s29, v36 :: v_dual_add_nc_u32 v38, 1, v38
	s_add_co_i32 s39, s39, -1
	s_or_b32 s38, vcc_lo, s38
	s_and_not1_b32 exec_lo, exec_lo, s38
	s_cbranch_execz .LBB21_45
.LBB21_23:                              ;   Parent Loop BB21_13 Depth=1
                                        ; =>  This Loop Header: Depth=2
                                        ;       Child Loop BB21_28 Depth 3
                                        ;         Child Loop BB21_37 Depth 4
	s_delay_alu instid0(VALU_DEP_1) | instskip(SKIP_1) | instid1(SALU_CYCLE_1)
	v_add_nc_u32_e32 v39, 1, v37
	s_and_saveexec_b32 s4, s1
	s_xor_b32 s4, exec_lo, s4
; %bb.24:                               ;   in Loop: Header=BB21_23 Depth=2
	v_add_nc_u32_e32 v37, 1, v37
                                        ; implicit-def: $vgpr39
; %bb.25:                               ;   in Loop: Header=BB21_23 Depth=2
	s_and_not1_saveexec_b32 s40, s4
	s_cbranch_execz .LBB21_22
; %bb.26:                               ;   in Loop: Header=BB21_23 Depth=2
	s_delay_alu instid0(VALU_DEP_1)
	v_add_nc_u32_e32 v0, v37, v35
	v_cmp_gt_i32_e64 s4, s22, v39
	v_mov_b32_e32 v42, v26
	s_mov_b32 s41, 0
	v_mov_b32_e32 v41, v38
	v_mad_u32 v0, v0, s22, v37
	global_load_b128 v[0:3], v0, s[12:13] scale_offset
	s_wait_loadcnt 0x0
	v_mul_f64_e32 v[4:5], v[2:3], v[2:3]
	s_delay_alu instid0(VALU_DEP_1) | instskip(NEXT) | instid1(VALU_DEP_1)
	v_fmac_f64_e32 v[4:5], v[0:1], v[0:1]
	v_div_scale_f64 v[6:7], null, v[4:5], v[4:5], 1.0
	s_delay_alu instid0(VALU_DEP_1) | instskip(SKIP_1) | instid1(TRANS32_DEP_1)
	v_rcp_f64_e32 v[8:9], v[6:7]
	v_nop
	v_fma_f64 v[10:11], -v[6:7], v[8:9], 1.0
	s_delay_alu instid0(VALU_DEP_1) | instskip(NEXT) | instid1(VALU_DEP_1)
	v_fmac_f64_e32 v[8:9], v[8:9], v[10:11]
	v_fma_f64 v[10:11], -v[6:7], v[8:9], 1.0
	s_delay_alu instid0(VALU_DEP_1) | instskip(SKIP_1) | instid1(VALU_DEP_1)
	v_fmac_f64_e32 v[8:9], v[8:9], v[10:11]
	v_div_scale_f64 v[10:11], vcc_lo, 1.0, v[4:5], 1.0
	v_mul_f64_e32 v[12:13], v[10:11], v[8:9]
	s_delay_alu instid0(VALU_DEP_1) | instskip(NEXT) | instid1(VALU_DEP_1)
	v_fma_f64 v[6:7], -v[6:7], v[12:13], v[10:11]
	v_div_fmas_f64 v[6:7], v[6:7], v[8:9], v[12:13]
	s_delay_alu instid0(VALU_DEP_1) | instskip(SKIP_1) | instid1(VALU_DEP_1)
	v_div_fixup_f64 v[24:25], v[6:7], v[4:5], 1.0
	v_add_nc_u32_e32 v4, v37, v32
	v_mul_lo_u32 v40, v4, s22
	s_branch .LBB21_28
.LBB21_27:                              ;   in Loop: Header=BB21_28 Depth=3
	s_wait_xcnt 0x0
	s_or_b32 exec_lo, exec_lo, s42
	v_dual_add_nc_u32 v42, 64, v42 :: v_dual_add_nc_u32 v41, s30, v41
	s_delay_alu instid0(VALU_DEP_1) | instskip(SKIP_1) | instid1(SALU_CYCLE_1)
	v_cmp_le_i32_e32 vcc_lo, s22, v42
	s_or_b32 s41, vcc_lo, s41
	s_and_not1_b32 exec_lo, exec_lo, s41
	s_cbranch_execz .LBB21_21
.LBB21_28:                              ;   Parent Loop BB21_13 Depth=1
                                        ;     Parent Loop BB21_23 Depth=2
                                        ; =>    This Loop Header: Depth=3
                                        ;         Child Loop BB21_37 Depth 4
	s_delay_alu instid0(VALU_DEP_1)
	v_add_nc_u32_e32 v8, v42, v40
	s_and_b32 vcc_lo, exec_lo, s28
	s_cbranch_vccz .LBB21_43
; %bb.29:                               ;   in Loop: Header=BB21_28 Depth=3
	v_add_nc_u32_e32 v4, v42, v40
	v_add_nc_u32_e32 v5, v42, v32
	s_delay_alu instid0(VALU_DEP_1)
	v_mad_u32 v9, v5, s22, v37
	s_cbranch_execnz .LBB21_31
.LBB21_30:                              ;   in Loop: Header=BB21_28 Depth=3
	v_mad_u32 v4, v5, s22, v37
.LBB21_31:                              ;   in Loop: Header=BB21_28 Depth=3
	global_load_b128 v[4:7], v4, s[12:13] scale_offset
	s_and_b32 vcc_lo, exec_lo, s28
	s_cbranch_vccz .LBB21_44
; %bb.32:                               ;   in Loop: Header=BB21_28 Depth=3
	s_cbranch_execnz .LBB21_34
.LBB21_33:                              ;   in Loop: Header=BB21_28 Depth=3
	v_mov_b32_e32 v8, v9
.LBB21_34:                              ;   in Loop: Header=BB21_28 Depth=3
	s_wait_loadcnt 0x0
	v_mul_f64_e32 v[10:11], v[2:3], v[6:7]
	v_mul_f64_e64 v[12:13], v[2:3], -v[4:5]
	s_delay_alu instid0(VALU_DEP_2) | instskip(NEXT) | instid1(VALU_DEP_2)
	v_fmac_f64_e32 v[10:11], v[4:5], v[0:1]
	v_fmac_f64_e32 v[12:13], v[6:7], v[0:1]
	s_wait_xcnt 0x0
	s_delay_alu instid0(VALU_DEP_2) | instskip(NEXT) | instid1(VALU_DEP_2)
	v_mul_f64_e32 v[4:5], v[24:25], v[10:11]
	v_mul_f64_e32 v[6:7], v[24:25], v[12:13]
	global_store_b128 v8, v[4:7], s[12:13] scale_offset
	s_wait_xcnt 0x0
	s_and_saveexec_b32 s42, s4
	s_cbranch_execz .LBB21_27
; %bb.35:                               ;   in Loop: Header=BB21_28 Depth=3
	v_dual_mov_b32 v43, v41 :: v_dual_mov_b32 v44, v36
	v_mov_b32_e32 v45, v39
	s_mov_b32 s43, s39
	s_branch .LBB21_37
.LBB21_36:                              ;   in Loop: Header=BB21_37 Depth=4
	s_wait_loadcnt 0x0
	s_wait_xcnt 0x0
	v_dual_fma_f64 v[12:13], -v[4:5], v[8:9], v[12:13] :: v_dual_add_nc_u32 v43, 1, v43
	v_fma_f64 v[8:9], -v[6:7], v[8:9], v[14:15]
	v_add_nc_u32_e32 v44, 1, v44
	s_add_co_i32 s43, s43, -1
	v_add_nc_u32_e32 v45, 1, v45
	s_cmp_eq_u32 s43, 0
	s_delay_alu instid0(VALU_DEP_4) | instskip(NEXT) | instid1(VALU_DEP_4)
	v_fmac_f64_e32 v[12:13], v[6:7], v[10:11]
	v_fma_f64 v[14:15], -v[4:5], v[10:11], v[8:9]
	global_store_b128 v46, v[12:15], s[12:13] scale_offset
	s_cbranch_scc1 .LBB21_27
.LBB21_37:                              ;   Parent Loop BB21_13 Depth=1
                                        ;     Parent Loop BB21_23 Depth=2
                                        ;       Parent Loop BB21_28 Depth=3
                                        ; =>      This Inner Loop Header: Depth=4
	s_delay_alu instid0(VALU_DEP_2)
	v_mov_b32_e32 v8, v44
	s_and_not1_b32 vcc_lo, exec_lo, s28
	s_cbranch_vccnz .LBB21_39
; %bb.38:                               ;   in Loop: Header=BB21_37 Depth=4
	v_add_nc_u32_e32 v8, v45, v35
	s_delay_alu instid0(VALU_DEP_1)
	v_mad_u32 v8, v8, s22, v37
.LBB21_39:                              ;   in Loop: Header=BB21_37 Depth=4
	global_load_b128 v[8:11], v8, s[12:13] scale_offset
	s_wait_xcnt 0x1
	v_dual_mov_b32 v13, v43 :: v_dual_add_nc_u32 v12, v45, v32
	s_and_not1_b32 vcc_lo, exec_lo, s28
	s_delay_alu instid0(VALU_DEP_1)
	v_mad_u32 v47, v12, s22, v42
	s_cbranch_vccnz .LBB21_41
; %bb.40:                               ;   in Loop: Header=BB21_37 Depth=4
	v_mad_u32 v13, v12, s22, v42
.LBB21_41:                              ;   in Loop: Header=BB21_37 Depth=4
	global_load_b128 v[12:15], v13, s[12:13] scale_offset
	v_mov_b32_e32 v46, v43
	s_and_not1_b32 vcc_lo, exec_lo, s28
	s_cbranch_vccnz .LBB21_36
; %bb.42:                               ;   in Loop: Header=BB21_37 Depth=4
	v_mov_b32_e32 v46, v47
	s_branch .LBB21_36
.LBB21_43:                              ;   in Loop: Header=BB21_28 Depth=3
                                        ; implicit-def: $vgpr4
	v_add_nc_u32_e32 v5, v42, v32
	s_delay_alu instid0(VALU_DEP_1)
	v_mad_u32 v9, v5, s22, v37
	s_branch .LBB21_30
.LBB21_44:                              ;   in Loop: Header=BB21_28 Depth=3
                                        ; implicit-def: $vgpr8
	s_branch .LBB21_33
.LBB21_45:                              ;   in Loop: Header=BB21_13 Depth=1
	s_or_b32 exec_lo, exec_lo, s38
.LBB21_46:                              ;   in Loop: Header=BB21_13 Depth=1
	v_subrev_nc_u32_e32 v8, s24, v34
	v_add_nc_u32_e32 v9, 1, v33
	s_mov_b32 s4, exec_lo
	s_delay_alu instid0(VALU_DEP_1)
	v_cmpx_lt_i32_e64 v9, v8
	s_cbranch_execz .LBB21_11
; %bb.47:                               ;   in Loop: Header=BB21_13 Depth=1
	v_mul_lo_u32 v10, s26, v9
	s_mov_b32 s38, 0
	s_branch .LBB21_50
.LBB21_48:                              ;   in Loop: Header=BB21_50 Depth=2
	s_or_b32 exec_lo, exec_lo, s39
.LBB21_49:                              ;   in Loop: Header=BB21_50 Depth=2
	v_dual_add_nc_u32 v9, 1, v9 :: v_dual_add_nc_u32 v10, s26, v10
	s_delay_alu instid0(VALU_DEP_1) | instskip(SKIP_1) | instid1(SALU_CYCLE_1)
	v_cmp_ge_i32_e32 vcc_lo, v9, v8
	s_or_b32 s38, vcc_lo, s38
	s_and_not1_b32 exec_lo, exec_lo, s38
	s_cbranch_execz .LBB21_11
.LBB21_50:                              ;   Parent Loop BB21_13 Depth=1
                                        ; =>  This Loop Header: Depth=2
                                        ;       Child Loop BB21_55 Depth 3
                                        ;       Child Loop BB21_62 Depth 3
                                        ;         Child Loop BB21_64 Depth 4
                                        ;           Child Loop BB21_66 Depth 5
	s_wait_dscnt 0x0
	global_load_b32 v0, v9, s[10:11] scale_offset
	v_mov_b32_e32 v1, s19
	s_wait_xcnt 0x0
	s_and_saveexec_b32 s39, s2
	s_cbranch_execz .LBB21_52
; %bb.51:                               ;   in Loop: Header=BB21_50 Depth=2
	global_load_b32 v1, v[22:23], off
	s_wait_loadcnt 0x0
	v_subrev_nc_u32_e32 v1, s24, v1
.LBB21_52:                              ;   in Loop: Header=BB21_50 Depth=2
	s_wait_xcnt 0x0
	s_or_b32 exec_lo, exec_lo, s39
	s_wait_loadcnt 0x0
	v_subrev_nc_u32_e32 v0, s24, v0
	v_mov_b32_e32 v2, v20
	s_mov_b32 s39, exec_lo
	s_delay_alu instid0(VALU_DEP_2)
	v_cmpx_lt_i32_e64 v1, v0
	s_cbranch_execz .LBB21_58
; %bb.53:                               ;   in Loop: Header=BB21_50 Depth=2
	v_mov_b32_e32 v3, v20
	s_mov_b32 s40, 0
	s_branch .LBB21_55
.LBB21_54:                              ;   in Loop: Header=BB21_55 Depth=3
	s_wait_xcnt 0x0
	s_or_b32 exec_lo, exec_lo, s41
	s_delay_alu instid0(VALU_DEP_1) | instskip(SKIP_2) | instid1(SALU_CYCLE_1)
	v_cmp_ge_i32_e32 vcc_lo, v1, v0
	v_mov_b32_e32 v3, v2
	s_or_b32 s40, vcc_lo, s40
	s_and_not1_b32 exec_lo, exec_lo, s40
	s_cbranch_execz .LBB21_57
.LBB21_55:                              ;   Parent Loop BB21_13 Depth=1
                                        ;     Parent Loop BB21_50 Depth=2
                                        ; =>    This Inner Loop Header: Depth=3
	s_delay_alu instid0(VALU_DEP_1) | instskip(SKIP_1) | instid1(VALU_DEP_1)
	v_dual_mov_b32 v1, s19 :: v_dual_add_nc_u32 v2, 64, v3
	s_mov_b32 s41, exec_lo
	v_cmpx_lt_i32_e64 v2, v27
	s_cbranch_execz .LBB21_54
; %bb.56:                               ;   in Loop: Header=BB21_55 Depth=3
	global_load_b32 v1, v3, s[10:11] offset:256 scale_offset
	s_wait_loadcnt 0x0
	v_subrev_nc_u32_e32 v1, s24, v1
	s_branch .LBB21_54
.LBB21_57:                              ;   in Loop: Header=BB21_50 Depth=2
	s_or_b32 exec_lo, exec_lo, s40
.LBB21_58:                              ;   in Loop: Header=BB21_50 Depth=2
	s_delay_alu instid0(SALU_CYCLE_1)
	s_or_b32 exec_lo, exec_lo, s39
	v_cmp_eq_u32_e32 vcc_lo, v1, v0
	s_cbranch_vccz .LBB21_49
; %bb.59:                               ;   in Loop: Header=BB21_50 Depth=2
	s_ctz_i32_b32 s39, vcc_lo
	s_delay_alu instid0(SALU_CYCLE_1) | instskip(NEXT) | instid1(SALU_CYCLE_1)
	s_lshl_b32 s39, s39, 2
	v_mov_b32_e32 v0, s39
	ds_bpermute_b32 v0, v0, v2
	s_and_saveexec_b32 s39, s0
	s_cbranch_execz .LBB21_48
; %bb.60:                               ;   in Loop: Header=BB21_50 Depth=2
	v_mul_lo_u32 v11, v9, s22
	s_wait_dscnt 0x0
	v_mul_lo_u32 v12, v0, s22
	v_dual_mov_b32 v13, v31 :: v_dual_mov_b32 v14, v26
	s_mov_b32 s40, 0
	s_branch .LBB21_62
.LBB21_61:                              ;   in Loop: Header=BB21_62 Depth=3
	v_dual_add_nc_u32 v14, 64, v14 :: v_dual_add_nc_u32 v13, s30, v13
	s_delay_alu instid0(VALU_DEP_1)
	v_cmp_le_i32_e32 vcc_lo, s22, v14
	s_or_b32 s40, vcc_lo, s40
	s_wait_xcnt 0x0
	s_and_not1_b32 exec_lo, exec_lo, s40
	s_cbranch_execz .LBB21_48
.LBB21_62:                              ;   Parent Loop BB21_13 Depth=1
                                        ;     Parent Loop BB21_50 Depth=2
                                        ; =>    This Loop Header: Depth=3
                                        ;         Child Loop BB21_64 Depth 4
                                        ;           Child Loop BB21_66 Depth 5
	s_delay_alu instid0(VALU_DEP_1) | instskip(SKIP_2) | instid1(VALU_DEP_2)
	v_add_nc_u32_e32 v0, v14, v12
	v_mov_b32_e32 v24, v10
	s_mov_b32 s41, 0
	v_mul_lo_u32 v15, v0, s22
	s_branch .LBB21_64
.LBB21_63:                              ;   in Loop: Header=BB21_64 Depth=4
	global_load_b128 v[34:37], v0, s[12:13] scale_offset
	s_add_co_i32 s41, s41, 1
	v_add_nc_u32_e32 v24, 1, v24
	s_cmp_eq_u32 s41, s22
	s_wait_loadcnt 0x0
	v_add_f64_e64 v[2:3], v[34:35], -v[4:5]
	v_add_f64_e64 v[4:5], v[36:37], -v[6:7]
	global_store_b128 v0, v[2:5], s[12:13] scale_offset
	s_cbranch_scc1 .LBB21_61
.LBB21_64:                              ;   Parent Loop BB21_13 Depth=1
                                        ;     Parent Loop BB21_50 Depth=2
                                        ;       Parent Loop BB21_62 Depth=3
                                        ; =>      This Loop Header: Depth=4
                                        ;           Child Loop BB21_66 Depth 5
	s_wait_xcnt 0x0
	v_dual_mov_b32 v33, v24 :: v_dual_add_nc_u32 v0, s41, v11
	v_mov_b64_e32 v[4:5], 0
	v_mov_b64_e32 v[6:7], 0
	s_mov_b32 s42, 0
	s_delay_alu instid0(VALU_DEP_3)
	v_mul_lo_u32 v25, v0, s22
	s_branch .LBB21_66
.LBB21_65:                              ;   in Loop: Header=BB21_66 Depth=5
	global_load_b128 v[34:37], v34, s[12:13] scale_offset
	v_add_nc_u32_e32 v33, s22, v33
	s_add_co_i32 s42, s42, 1
	s_delay_alu instid0(SALU_CYCLE_1) | instskip(SKIP_3) | instid1(VALU_DEP_2)
	s_cmp_eq_u32 s22, s42
	s_wait_loadcnt 0x0
	v_fmac_f64_e32 v[4:5], v[0:1], v[34:35]
	v_fmac_f64_e32 v[6:7], v[2:3], v[34:35]
	v_fma_f64 v[4:5], -v[2:3], v[36:37], v[4:5]
	s_delay_alu instid0(VALU_DEP_2)
	v_fmac_f64_e32 v[6:7], v[0:1], v[36:37]
	s_cbranch_scc1 .LBB21_72
.LBB21_66:                              ;   Parent Loop BB21_13 Depth=1
                                        ;     Parent Loop BB21_50 Depth=2
                                        ;       Parent Loop BB21_62 Depth=3
                                        ;         Parent Loop BB21_64 Depth=4
                                        ; =>        This Inner Loop Header: Depth=5
	s_and_b32 vcc_lo, exec_lo, s28
	s_cbranch_vccz .LBB21_71
; %bb.67:                               ;   in Loop: Header=BB21_66 Depth=5
	s_wait_xcnt 0x1
	v_add_nc_u32_e32 v0, s42, v32
	s_delay_alu instid0(VALU_DEP_1)
	v_mad_u32 v0, v0, s22, v14
	s_cbranch_execnz .LBB21_69
.LBB21_68:                              ;   in Loop: Header=BB21_66 Depth=5
	s_wait_xcnt 0x1
	v_add_nc_u32_e32 v0, s42, v13
.LBB21_69:                              ;   in Loop: Header=BB21_66 Depth=5
	global_load_b128 v[0:3], v0, s[12:13] scale_offset
	s_wait_xcnt 0x1
	v_mov_b32_e32 v34, v33
	s_and_not1_b32 vcc_lo, exec_lo, s28
	s_cbranch_vccnz .LBB21_65
; %bb.70:                               ;   in Loop: Header=BB21_66 Depth=5
	v_add_nc_u32_e32 v34, s42, v25
	s_branch .LBB21_65
.LBB21_71:                              ;   in Loop: Header=BB21_66 Depth=5
                                        ; implicit-def: $vgpr0
	s_branch .LBB21_68
.LBB21_72:                              ;   in Loop: Header=BB21_64 Depth=4
	s_and_b32 vcc_lo, exec_lo, s28
	s_cbranch_vccz .LBB21_74
; %bb.73:                               ;   in Loop: Header=BB21_64 Depth=4
	s_wait_xcnt 0x1
	v_add_nc_u32_e32 v0, s41, v12
	s_delay_alu instid0(VALU_DEP_1)
	v_mad_u32 v0, v0, s22, v14
	s_cbranch_execnz .LBB21_63
	s_branch .LBB21_75
.LBB21_74:                              ;   in Loop: Header=BB21_64 Depth=4
                                        ; implicit-def: $vgpr0
.LBB21_75:                              ;   in Loop: Header=BB21_64 Depth=4
	s_wait_xcnt 0x1
	v_add_nc_u32_e32 v0, s41, v15
	s_branch .LBB21_63
.LBB21_76:
	s_or_b32 exec_lo, exec_lo, s33
	s_delay_alu instid0(SALU_CYCLE_1)
	s_and_b32 s2, s35, exec_lo
.LBB21_77:
	s_or_b32 exec_lo, exec_lo, s23
	s_wait_dscnt 0x0
	global_load_b32 v0, v29, s[10:11] scale_offset
	s_wait_kmcnt 0x0
	s_cmp_gt_i32 s22, 0
	s_mov_b32 s8, 0
	s_cselect_b32 s3, -1, 0
	s_wait_loadcnt 0x0
	v_subrev_nc_u32_e32 v0, s24, v0
	s_delay_alu instid0(VALU_DEP_1)
	v_cmp_eq_u32_e32 vcc_lo, v0, v16
	s_and_b32 s0, s3, vcc_lo
	s_wait_xcnt 0x0
	s_and_saveexec_b32 s4, s0
	s_cbranch_execz .LBB21_117
; %bb.78:
	v_cvt_f64_f32_e32 v[0:1], s25
	v_mul_lo_u32 v22, v29, s22
	s_cmp_eq_u64 s[16:17], 8
	s_mul_i32 s0, s22, s22
	s_cselect_b32 vcc_lo, -1, 0
	s_cmp_lg_u32 s18, 0
	v_mad_u32 v23, v29, s0, 1
	s_cselect_b32 s9, -1, 0
	s_add_co_i32 s10, s22, 1
	v_cmp_eq_u32_e64 s0, 0, v26
	v_dual_mov_b32 v25, 0 :: v_dual_mov_b32 v30, 0
	s_delay_alu instid0(VALU_DEP_4) | instskip(SKIP_3) | instid1(VALU_DEP_1)
	v_add_nc_u32_e32 v2, v22, v26
	s_lshl_b32 s11, s22, 6
	s_add_co_i32 s14, s22, -1
	s_mov_b32 s16, s2
                                        ; implicit-def: $sgpr15
	v_mad_u32 v24, s22, v2, s10
	v_dual_cndmask_b32 v19, v1, v19 :: v_dual_cndmask_b32 v18, v0, v18
	s_branch .LBB21_80
.LBB21_79:                              ;   in Loop: Header=BB21_80 Depth=1
	s_or_b32 exec_lo, exec_lo, s1
	s_delay_alu instid0(VALU_DEP_1)
	v_cmp_eq_u32_e32 vcc_lo, s22, v32
	s_add_co_i32 s14, s14, -1
	v_dual_add_nc_u32 v23, s10, v23 :: v_dual_add_nc_u32 v24, s10, v24
	v_mov_b32_e32 v30, v32
	s_or_b32 s8, vcc_lo, s8
	s_and_not1_b32 s1, s15, exec_lo
	s_and_b32 s15, s16, exec_lo
	s_delay_alu instid0(SALU_CYCLE_1)
	s_or_b32 s15, s1, s15
	s_and_not1_b32 exec_lo, exec_lo, s8
	s_cbranch_execz .LBB21_116
.LBB21_80:                              ; =>This Loop Header: Depth=1
                                        ;     Child Loop BB21_96 Depth 2
                                        ;       Child Loop BB21_105 Depth 3
	v_add_nc_u32_e32 v0, v30, v22
	v_cmp_ne_u32_e32 vcc_lo, 1, v28
	s_mov_b32 s17, 0
	s_mov_b32 s19, 0
	s_mov_b32 s1, -1
	v_mul_lo_u32 v31, v0, s22
	s_and_b32 vcc_lo, exec_lo, vcc_lo
	s_delay_alu instid0(VALU_DEP_1)
	v_add_nc_u32_e32 v4, v31, v30
	global_load_b128 v[0:3], v4, s[12:13] scale_offset
	s_wait_loadcnt 0x0
	scratch_store_b128 off, v[0:3], off offset:16
	s_cbranch_vccz .LBB21_83
; %bb.81:                               ;   in Loop: Header=BB21_80 Depth=1
	s_and_b32 vcc_lo, exec_lo, s1
	s_cbranch_vccnz .LBB21_92
.LBB21_82:                              ;   in Loop: Header=BB21_80 Depth=1
                                        ; implicit-def: $vgpr32
	s_wait_xcnt 0x0
	s_and_saveexec_b32 s1, s19
	s_delay_alu instid0(SALU_CYCLE_1)
	s_xor_b32 s19, exec_lo, s1
	s_cbranch_execnz .LBB21_93
	s_branch .LBB21_114
.LBB21_83:                              ;   in Loop: Header=BB21_80 Depth=1
	v_cmp_gt_f64_e32 vcc_lo, 0, v[0:1]
	v_xor_b32_e32 v5, 0x80000000, v1
	v_mov_b32_e32 v6, v0
	v_xor_b32_e32 v8, 0x80000000, v3
	s_mov_b32 s1, exec_lo
                                        ; implicit-def: $vgpr10_vgpr11
	s_delay_alu instid0(VALU_DEP_3) | instskip(SKIP_1) | instid1(VALU_DEP_3)
	v_cndmask_b32_e32 v7, v1, v5, vcc_lo
	v_cmp_gt_f64_e32 vcc_lo, 0, v[2:3]
	v_dual_cndmask_b32 v9, v3, v8 :: v_dual_mov_b32 v8, v2
	s_wait_xcnt 0x0
	s_delay_alu instid0(VALU_DEP_1)
	v_cmpx_ngt_f64_e32 v[6:7], v[8:9]
	s_xor_b32 s1, exec_lo, s1
	s_cbranch_execz .LBB21_87
; %bb.84:                               ;   in Loop: Header=BB21_80 Depth=1
	v_mov_b64_e32 v[10:11], 0
	s_mov_b32 s19, exec_lo
	v_cmpx_neq_f64_e32 0, v[2:3]
	s_cbranch_execz .LBB21_86
; %bb.85:                               ;   in Loop: Header=BB21_80 Depth=1
	v_div_scale_f64 v[10:11], null, v[8:9], v[8:9], v[6:7]
	v_div_scale_f64 v[20:21], vcc_lo, v[6:7], v[8:9], v[6:7]
	s_delay_alu instid0(VALU_DEP_2) | instskip(SKIP_1) | instid1(TRANS32_DEP_1)
	v_rcp_f64_e32 v[12:13], v[10:11]
	v_nop
	v_fma_f64 v[14:15], -v[10:11], v[12:13], 1.0
	s_delay_alu instid0(VALU_DEP_1) | instskip(NEXT) | instid1(VALU_DEP_1)
	v_fmac_f64_e32 v[12:13], v[12:13], v[14:15]
	v_fma_f64 v[14:15], -v[10:11], v[12:13], 1.0
	s_delay_alu instid0(VALU_DEP_1) | instskip(NEXT) | instid1(VALU_DEP_1)
	v_fmac_f64_e32 v[12:13], v[12:13], v[14:15]
	v_mul_f64_e32 v[14:15], v[20:21], v[12:13]
	s_delay_alu instid0(VALU_DEP_1) | instskip(NEXT) | instid1(VALU_DEP_1)
	v_fma_f64 v[10:11], -v[10:11], v[14:15], v[20:21]
	v_div_fmas_f64 v[10:11], v[10:11], v[12:13], v[14:15]
	s_delay_alu instid0(VALU_DEP_1) | instskip(NEXT) | instid1(VALU_DEP_1)
	v_div_fixup_f64 v[6:7], v[10:11], v[8:9], v[6:7]
	v_fma_f64 v[6:7], v[6:7], v[6:7], 1.0
	s_delay_alu instid0(VALU_DEP_1) | instskip(SKIP_1) | instid1(VALU_DEP_1)
	v_cmp_gt_f64_e32 vcc_lo, 0x10000000, v[6:7]
	v_cndmask_b32_e64 v5, 0, 0x100, vcc_lo
	v_ldexp_f64 v[6:7], v[6:7], v5
	v_cndmask_b32_e64 v5, 0, 0xffffff80, vcc_lo
	s_delay_alu instid0(VALU_DEP_2) | instskip(SKIP_1) | instid1(TRANS32_DEP_1)
	v_rsq_f64_e32 v[10:11], v[6:7]
	v_cmp_class_f64_e64 vcc_lo, v[6:7], 0x260
	v_mul_f64_e32 v[12:13], v[6:7], v[10:11]
	v_mul_f64_e32 v[10:11], 0.5, v[10:11]
	s_delay_alu instid0(VALU_DEP_1) | instskip(NEXT) | instid1(VALU_DEP_1)
	v_fma_f64 v[14:15], -v[10:11], v[12:13], 0.5
	v_fmac_f64_e32 v[12:13], v[12:13], v[14:15]
	v_fmac_f64_e32 v[10:11], v[10:11], v[14:15]
	s_delay_alu instid0(VALU_DEP_2) | instskip(NEXT) | instid1(VALU_DEP_1)
	v_fma_f64 v[14:15], -v[12:13], v[12:13], v[6:7]
	v_fmac_f64_e32 v[12:13], v[14:15], v[10:11]
	s_delay_alu instid0(VALU_DEP_1) | instskip(NEXT) | instid1(VALU_DEP_1)
	v_fma_f64 v[14:15], -v[12:13], v[12:13], v[6:7]
	v_fmac_f64_e32 v[12:13], v[14:15], v[10:11]
	s_delay_alu instid0(VALU_DEP_1) | instskip(NEXT) | instid1(VALU_DEP_1)
	v_ldexp_f64 v[10:11], v[12:13], v5
	v_dual_cndmask_b32 v7, v11, v7 :: v_dual_cndmask_b32 v6, v10, v6
	s_delay_alu instid0(VALU_DEP_1)
	v_mul_f64_e32 v[10:11], v[8:9], v[6:7]
.LBB21_86:                              ;   in Loop: Header=BB21_80 Depth=1
	s_or_b32 exec_lo, exec_lo, s19
                                        ; implicit-def: $vgpr6_vgpr7
                                        ; implicit-def: $vgpr8_vgpr9
.LBB21_87:                              ;   in Loop: Header=BB21_80 Depth=1
	s_and_not1_saveexec_b32 s1, s1
	s_cbranch_execz .LBB21_89
; %bb.88:                               ;   in Loop: Header=BB21_80 Depth=1
	v_div_scale_f64 v[10:11], null, v[6:7], v[6:7], v[8:9]
	v_div_scale_f64 v[20:21], vcc_lo, v[8:9], v[6:7], v[8:9]
	s_delay_alu instid0(VALU_DEP_2) | instskip(SKIP_1) | instid1(TRANS32_DEP_1)
	v_rcp_f64_e32 v[12:13], v[10:11]
	v_nop
	v_fma_f64 v[14:15], -v[10:11], v[12:13], 1.0
	s_delay_alu instid0(VALU_DEP_1) | instskip(NEXT) | instid1(VALU_DEP_1)
	v_fmac_f64_e32 v[12:13], v[12:13], v[14:15]
	v_fma_f64 v[14:15], -v[10:11], v[12:13], 1.0
	s_delay_alu instid0(VALU_DEP_1) | instskip(NEXT) | instid1(VALU_DEP_1)
	v_fmac_f64_e32 v[12:13], v[12:13], v[14:15]
	v_mul_f64_e32 v[14:15], v[20:21], v[12:13]
	s_delay_alu instid0(VALU_DEP_1) | instskip(NEXT) | instid1(VALU_DEP_1)
	v_fma_f64 v[10:11], -v[10:11], v[14:15], v[20:21]
	v_div_fmas_f64 v[10:11], v[10:11], v[12:13], v[14:15]
	s_delay_alu instid0(VALU_DEP_1) | instskip(NEXT) | instid1(VALU_DEP_1)
	v_div_fixup_f64 v[8:9], v[10:11], v[6:7], v[8:9]
	v_fma_f64 v[8:9], v[8:9], v[8:9], 1.0
	s_delay_alu instid0(VALU_DEP_1) | instskip(SKIP_1) | instid1(VALU_DEP_1)
	v_cmp_gt_f64_e32 vcc_lo, 0x10000000, v[8:9]
	v_cndmask_b32_e64 v5, 0, 0x100, vcc_lo
	v_ldexp_f64 v[8:9], v[8:9], v5
	v_cndmask_b32_e64 v5, 0, 0xffffff80, vcc_lo
	s_delay_alu instid0(VALU_DEP_2) | instskip(SKIP_1) | instid1(TRANS32_DEP_1)
	v_rsq_f64_e32 v[10:11], v[8:9]
	v_cmp_class_f64_e64 vcc_lo, v[8:9], 0x260
	v_mul_f64_e32 v[12:13], v[8:9], v[10:11]
	v_mul_f64_e32 v[10:11], 0.5, v[10:11]
	s_delay_alu instid0(VALU_DEP_1) | instskip(NEXT) | instid1(VALU_DEP_1)
	v_fma_f64 v[14:15], -v[10:11], v[12:13], 0.5
	v_fmac_f64_e32 v[12:13], v[12:13], v[14:15]
	v_fmac_f64_e32 v[10:11], v[10:11], v[14:15]
	s_delay_alu instid0(VALU_DEP_2) | instskip(NEXT) | instid1(VALU_DEP_1)
	v_fma_f64 v[14:15], -v[12:13], v[12:13], v[8:9]
	v_fmac_f64_e32 v[12:13], v[14:15], v[10:11]
	s_delay_alu instid0(VALU_DEP_1) | instskip(NEXT) | instid1(VALU_DEP_1)
	v_fma_f64 v[14:15], -v[12:13], v[12:13], v[8:9]
	v_fmac_f64_e32 v[12:13], v[14:15], v[10:11]
	s_delay_alu instid0(VALU_DEP_1) | instskip(NEXT) | instid1(VALU_DEP_1)
	v_ldexp_f64 v[10:11], v[12:13], v5
	v_dual_cndmask_b32 v9, v11, v9 :: v_dual_cndmask_b32 v8, v10, v8
	s_delay_alu instid0(VALU_DEP_1)
	v_mul_f64_e32 v[10:11], v[6:7], v[8:9]
.LBB21_89:                              ;   in Loop: Header=BB21_80 Depth=1
	s_or_b32 exec_lo, exec_lo, s1
	s_delay_alu instid0(VALU_DEP_1)
	v_cmp_ge_f64_e32 vcc_lo, v[18:19], v[10:11]
	v_cndmask_b32_e32 v5, 16, v25, vcc_lo
	scratch_load_b128 v[6:9], v5, off
	s_wait_loadcnt 0x0
	scratch_store_b128 off, v[6:9], off offset:16
	s_wait_xcnt 0x0
	s_and_saveexec_b32 s1, s0
	s_cbranch_execz .LBB21_91
; %bb.90:                               ;   in Loop: Header=BB21_80 Depth=1
	scratch_load_b128 v[6:9], v5, off
	s_wait_xcnt 0x0
	v_ashrrev_i32_e32 v5, 31, v4
	s_delay_alu instid0(VALU_DEP_1)
	v_lshl_add_u64 v[4:5], v[4:5], 4, s[12:13]
	s_wait_loadcnt 0x0
	global_store_b128 v[4:5], v[6:9], off
.LBB21_91:                              ;   in Loop: Header=BB21_80 Depth=1
	s_wait_xcnt 0x0
	s_or_b32 exec_lo, exec_lo, s1
	s_mov_b32 s19, -1
	s_branch .LBB21_82
.LBB21_92:                              ;   in Loop: Header=BB21_80 Depth=1
	v_cmp_neq_f64_e32 vcc_lo, 0, v[0:1]
	v_cmp_neq_f64_e64 s1, 0, v[2:3]
	s_and_not1_b32 s19, s19, exec_lo
	s_mov_b32 s17, -1
	s_or_b32 s1, vcc_lo, s1
	s_delay_alu instid0(SALU_CYCLE_1) | instskip(NEXT) | instid1(SALU_CYCLE_1)
	s_and_b32 s1, s1, exec_lo
	s_or_b32 s19, s19, s1
                                        ; implicit-def: $vgpr32
	s_wait_xcnt 0x0
	s_and_saveexec_b32 s1, s19
	s_delay_alu instid0(SALU_CYCLE_1)
	s_xor_b32 s19, exec_lo, s1
	s_cbranch_execz .LBB21_114
.LBB21_93:                              ;   in Loop: Header=BB21_80 Depth=1
	v_add_nc_u32_e32 v32, 1, v30
	s_mov_b32 s23, exec_lo
	s_delay_alu instid0(VALU_DEP_1) | instskip(NEXT) | instid1(VALU_DEP_1)
	v_add_nc_u32_e32 v33, v32, v26
	v_cmpx_gt_i32_e64 s22, v33
	s_cbranch_execz .LBB21_113
; %bb.94:                               ;   in Loop: Header=BB21_80 Depth=1
	scratch_load_b128 v[0:3], off, off offset:16
	v_cmp_gt_i32_e64 s1, s22, v32
	s_mov_b32 s25, 0
	s_wait_loadcnt 0x0
	v_dual_mul_f64 v[4:5], v[2:3], v[2:3] :: v_dual_mov_b32 v34, v24
	s_delay_alu instid0(VALU_DEP_1) | instskip(NEXT) | instid1(VALU_DEP_1)
	v_fmac_f64_e32 v[4:5], v[0:1], v[0:1]
	v_div_scale_f64 v[6:7], null, v[4:5], v[4:5], 1.0
	s_delay_alu instid0(VALU_DEP_1) | instskip(SKIP_1) | instid1(TRANS32_DEP_1)
	v_rcp_f64_e32 v[8:9], v[6:7]
	v_nop
	v_fma_f64 v[10:11], -v[6:7], v[8:9], 1.0
	s_delay_alu instid0(VALU_DEP_1) | instskip(NEXT) | instid1(VALU_DEP_1)
	v_fmac_f64_e32 v[8:9], v[8:9], v[10:11]
	v_fma_f64 v[10:11], -v[6:7], v[8:9], 1.0
	s_delay_alu instid0(VALU_DEP_1) | instskip(SKIP_1) | instid1(VALU_DEP_1)
	v_fmac_f64_e32 v[8:9], v[8:9], v[10:11]
	v_div_scale_f64 v[10:11], vcc_lo, 1.0, v[4:5], 1.0
	v_mul_f64_e32 v[12:13], v[10:11], v[8:9]
	s_delay_alu instid0(VALU_DEP_1) | instskip(NEXT) | instid1(VALU_DEP_1)
	v_fma_f64 v[6:7], -v[6:7], v[12:13], v[10:11]
	v_div_fmas_f64 v[6:7], v[6:7], v[8:9], v[12:13]
	s_delay_alu instid0(VALU_DEP_1)
	v_div_fixup_f64 v[20:21], v[6:7], v[4:5], 1.0
	s_branch .LBB21_96
.LBB21_95:                              ;   in Loop: Header=BB21_96 Depth=2
	s_wait_xcnt 0x0
	s_or_b32 exec_lo, exec_lo, s26
	v_dual_add_nc_u32 v33, 64, v33 :: v_dual_add_nc_u32 v34, s11, v34
	s_delay_alu instid0(VALU_DEP_1) | instskip(SKIP_1) | instid1(SALU_CYCLE_1)
	v_cmp_le_i32_e32 vcc_lo, s22, v33
	s_or_b32 s25, vcc_lo, s25
	s_and_not1_b32 exec_lo, exec_lo, s25
	s_cbranch_execz .LBB21_113
.LBB21_96:                              ;   Parent Loop BB21_80 Depth=1
                                        ; =>  This Loop Header: Depth=2
                                        ;       Child Loop BB21_105 Depth 3
	v_add_nc_u32_e32 v8, v33, v31
	s_and_b32 vcc_lo, exec_lo, s9
	s_cbranch_vccz .LBB21_111
; %bb.97:                               ;   in Loop: Header=BB21_96 Depth=2
	v_add_nc_u32_e32 v4, v33, v31
	s_cbranch_execnz .LBB21_99
.LBB21_98:                              ;   in Loop: Header=BB21_96 Depth=2
	v_add_nc_u32_e32 v4, v33, v22
	s_delay_alu instid0(VALU_DEP_1)
	v_mad_u32 v4, v4, s22, v30
.LBB21_99:                              ;   in Loop: Header=BB21_96 Depth=2
	global_load_b128 v[4:7], v4, s[12:13] scale_offset
	s_and_b32 vcc_lo, exec_lo, s9
	s_cbranch_vccz .LBB21_112
; %bb.100:                              ;   in Loop: Header=BB21_96 Depth=2
	s_cbranch_execnz .LBB21_102
.LBB21_101:                             ;   in Loop: Header=BB21_96 Depth=2
	v_add_nc_u32_e32 v8, v33, v22
	s_delay_alu instid0(VALU_DEP_1)
	v_mad_u32 v8, v8, s22, v30
.LBB21_102:                             ;   in Loop: Header=BB21_96 Depth=2
	s_wait_loadcnt 0x0
	v_mul_f64_e32 v[10:11], v[2:3], v[6:7]
	v_mul_f64_e64 v[12:13], v[2:3], -v[4:5]
	s_delay_alu instid0(VALU_DEP_2) | instskip(NEXT) | instid1(VALU_DEP_2)
	v_fmac_f64_e32 v[10:11], v[4:5], v[0:1]
	v_fmac_f64_e32 v[12:13], v[6:7], v[0:1]
	s_wait_xcnt 0x0
	s_delay_alu instid0(VALU_DEP_2) | instskip(NEXT) | instid1(VALU_DEP_2)
	v_mul_f64_e32 v[4:5], v[20:21], v[10:11]
	v_mul_f64_e32 v[6:7], v[20:21], v[12:13]
	global_store_b128 v8, v[4:7], s[12:13] scale_offset
	s_wait_xcnt 0x0
	s_and_saveexec_b32 s26, s1
	s_cbranch_execz .LBB21_95
; %bb.103:                              ;   in Loop: Header=BB21_96 Depth=2
	v_dual_mov_b32 v35, v34 :: v_dual_mov_b32 v36, v23
	v_mov_b32_e32 v37, v32
	s_mov_b32 s27, s14
	s_branch .LBB21_105
.LBB21_104:                             ;   in Loop: Header=BB21_105 Depth=3
	s_wait_loadcnt 0x0
	v_dual_fma_f64 v[12:13], -v[4:5], v[8:9], v[12:13] :: v_dual_add_nc_u32 v35, 1, v35
	v_fma_f64 v[8:9], -v[6:7], v[8:9], v[14:15]
	v_add_nc_u32_e32 v36, 1, v36
	s_add_co_i32 s27, s27, -1
	v_add_nc_u32_e32 v37, 1, v37
	s_cmp_eq_u32 s27, 0
	s_delay_alu instid0(VALU_DEP_4) | instskip(NEXT) | instid1(VALU_DEP_4)
	v_fmac_f64_e32 v[12:13], v[6:7], v[10:11]
	v_fma_f64 v[14:15], -v[4:5], v[10:11], v[8:9]
	global_store_b128 v38, v[12:15], s[12:13] scale_offset
	s_cbranch_scc1 .LBB21_95
.LBB21_105:                             ;   Parent Loop BB21_80 Depth=1
                                        ;     Parent Loop BB21_96 Depth=2
                                        ; =>    This Inner Loop Header: Depth=3
	s_wait_xcnt 0x0
	s_delay_alu instid0(VALU_DEP_1)
	v_dual_add_nc_u32 v12, v37, v22 :: v_dual_mov_b32 v8, v36
	s_and_not1_b32 vcc_lo, exec_lo, s9
	s_cbranch_vccnz .LBB21_107
; %bb.106:                              ;   in Loop: Header=BB21_105 Depth=3
	s_delay_alu instid0(VALU_DEP_1)
	v_mad_u32 v8, v12, s22, v30
.LBB21_107:                             ;   in Loop: Header=BB21_105 Depth=3
	global_load_b128 v[8:11], v8, s[12:13] scale_offset
	v_mad_u32 v39, v12, s22, v33
	v_mov_b32_e32 v13, v35
	s_and_not1_b32 vcc_lo, exec_lo, s9
	s_cbranch_vccnz .LBB21_109
; %bb.108:                              ;   in Loop: Header=BB21_105 Depth=3
	v_mad_u32 v13, v12, s22, v33
.LBB21_109:                             ;   in Loop: Header=BB21_105 Depth=3
	global_load_b128 v[12:15], v13, s[12:13] scale_offset
	v_mov_b32_e32 v38, v35
	s_and_not1_b32 vcc_lo, exec_lo, s9
	s_cbranch_vccnz .LBB21_104
; %bb.110:                              ;   in Loop: Header=BB21_105 Depth=3
	v_mov_b32_e32 v38, v39
	s_branch .LBB21_104
.LBB21_111:                             ;   in Loop: Header=BB21_96 Depth=2
                                        ; implicit-def: $vgpr4
	s_branch .LBB21_98
.LBB21_112:                             ;   in Loop: Header=BB21_96 Depth=2
                                        ; implicit-def: $vgpr8
	s_branch .LBB21_101
.LBB21_113:                             ;   in Loop: Header=BB21_80 Depth=1
	s_or_b32 exec_lo, exec_lo, s23
	s_delay_alu instid0(SALU_CYCLE_1)
	s_and_not1_b32 s17, s17, exec_lo
.LBB21_114:                             ;   in Loop: Header=BB21_80 Depth=1
	s_or_b32 exec_lo, exec_lo, s19
	s_delay_alu instid0(SALU_CYCLE_1) | instskip(SKIP_1) | instid1(SALU_CYCLE_1)
	s_and_not1_b32 s1, s16, exec_lo
	s_and_b32 s16, s16, exec_lo
	s_or_b32 s16, s1, s16
	s_and_saveexec_b32 s1, s17
	s_cbranch_execz .LBB21_79
; %bb.115:                              ;   in Loop: Header=BB21_80 Depth=1
	v_add_nc_u32_e32 v32, 1, v30
	s_or_b32 s16, s16, exec_lo
	s_branch .LBB21_79
.LBB21_116:
	s_or_b32 exec_lo, exec_lo, s8
	s_delay_alu instid0(SALU_CYCLE_1) | instskip(SKIP_1) | instid1(SALU_CYCLE_1)
	s_and_not1_b32 s0, s2, exec_lo
	s_and_b32 s1, s15, exec_lo
	s_or_b32 s2, s0, s1
.LBB21_117:
	s_or_b32 exec_lo, exec_lo, s4
	v_add_nc_u32_e32 v12, 1, v29
	s_mov_b32 s1, exec_lo
	s_delay_alu instid0(VALU_DEP_1)
	v_cmpx_lt_i32_e64 v12, v27
	s_cbranch_execz .LBB21_141
; %bb.118:
	v_mul_lo_u32 v13, v29, s22
	s_mul_i32 s4, s22, s22
	v_cmp_gt_i32_e64 s0, s22, v26
	v_mul_lo_u32 v0, s4, v12
	s_cmp_lg_u32 s18, 0
	s_mov_b32 s8, 0
	s_cselect_b32 s9, -1, 0
	s_add_co_i32 s10, s22, 1
	s_add_co_i32 s11, s22, -1
	v_mad_u32 v14, s22, v13, s22
	s_delay_alu instid0(VALU_DEP_2)
	v_add3_u32 v15, v0, s22, v26
	s_branch .LBB21_120
.LBB21_119:                             ;   in Loop: Header=BB21_120 Depth=1
	s_delay_alu instid0(VALU_DEP_1) | instskip(NEXT) | instid1(VALU_DEP_1)
	v_dual_add_nc_u32 v12, 1, v12 :: v_dual_add_nc_u32 v15, s4, v15
	v_cmp_ge_i32_e32 vcc_lo, v12, v27
	s_or_b32 s8, vcc_lo, s8
	s_delay_alu instid0(SALU_CYCLE_1)
	s_and_not1_b32 exec_lo, exec_lo, s8
	s_cbranch_execz .LBB21_141
.LBB21_120:                             ; =>This Loop Header: Depth=1
                                        ;     Child Loop BB21_123 Depth 2
                                        ;       Child Loop BB21_126 Depth 3
                                        ;         Child Loop BB21_129 Depth 4
	s_and_not1_b32 vcc_lo, exec_lo, s3
	s_cbranch_vccnz .LBB21_119
; %bb.121:                              ;   in Loop: Header=BB21_120 Depth=1
	v_mul_lo_u32 v18, v12, s22
	s_delay_alu instid0(VALU_DEP_3)
	v_dual_mov_b32 v19, v15 :: v_dual_mov_b32 v20, v14
	s_mov_b32 s15, 0
	s_mov_b32 s14, s11
	s_branch .LBB21_123
.LBB21_122:                             ;   in Loop: Header=BB21_123 Depth=2
	s_or_b32 exec_lo, exec_lo, s17
	v_dual_add_nc_u32 v20, s10, v20 :: v_dual_add_nc_u32 v19, s22, v19
	s_add_co_i32 s14, s14, -1
	s_cmp_eq_u32 s16, s22
	s_mov_b32 s15, s16
	s_cbranch_scc1 .LBB21_119
.LBB21_123:                             ;   Parent Loop BB21_120 Depth=1
                                        ; =>  This Loop Header: Depth=2
                                        ;       Child Loop BB21_126 Depth 3
                                        ;         Child Loop BB21_129 Depth 4
	s_add_co_i32 s16, s15, 1
	s_and_saveexec_b32 s17, s0
	s_cbranch_execz .LBB21_122
; %bb.124:                              ;   in Loop: Header=BB21_123 Depth=2
	s_delay_alu instid0(VALU_DEP_2) | instskip(SKIP_2) | instid1(VALU_DEP_2)
	v_dual_add_nc_u32 v0, s15, v13 :: v_dual_add_nc_u32 v1, s15, v18
	v_dual_mov_b32 v23, v19 :: v_dual_mov_b32 v24, v26
	s_cmp_lt_i32 s16, s22
	v_mul_lo_u32 v21, v0, s22
	s_delay_alu instid0(VALU_DEP_3)
	v_mul_lo_u32 v22, v1, s22
	s_cselect_b32 s18, -1, 0
	s_mov_b32 s19, 0
	s_branch .LBB21_126
.LBB21_125:                             ;   in Loop: Header=BB21_126 Depth=3
	v_dual_add_nc_u32 v24, 64, v24 :: v_dual_add_nc_u32 v23, 64, v23
	s_delay_alu instid0(VALU_DEP_1)
	v_cmp_le_i32_e32 vcc_lo, s22, v24
	s_or_b32 s19, vcc_lo, s19
	s_wait_xcnt 0x0
	s_and_not1_b32 exec_lo, exec_lo, s19
	s_cbranch_execz .LBB21_122
.LBB21_126:                             ;   Parent Loop BB21_120 Depth=1
                                        ;     Parent Loop BB21_123 Depth=2
                                        ; =>    This Loop Header: Depth=3
                                        ;         Child Loop BB21_129 Depth 4
	s_and_not1_b32 vcc_lo, exec_lo, s18
	s_cbranch_vccnz .LBB21_125
; %bb.127:                              ;   in Loop: Header=BB21_126 Depth=3
	v_add_nc_u32_e32 v0, v24, v18
	s_delay_alu instid0(VALU_DEP_2) | instskip(SKIP_4) | instid1(VALU_DEP_1)
	v_add_nc_u32_e32 v29, v24, v22
	s_mov_b32 s23, 0
	s_mov_b32 s25, s14
	;; [unrolled: 1-line block ×3, first 2 shown]
	v_mul_lo_u32 v25, v0, s22
	v_add_nc_u32_e32 v28, s15, v25
	s_branch .LBB21_129
.LBB21_128:                             ;   in Loop: Header=BB21_129 Depth=4
	s_wait_loadcnt 0x0
	v_fma_f64 v[8:9], -v[0:1], v[4:5], v[8:9]
	v_fma_f64 v[4:5], -v[2:3], v[4:5], v[10:11]
	s_add_co_i32 s25, s25, -1
	s_add_co_i32 s26, s26, 1
	s_add_co_i32 s23, s23, s22
	s_cmp_eq_u32 s25, 0
	s_delay_alu instid0(VALU_DEP_2) | instskip(NEXT) | instid1(VALU_DEP_2)
	v_fmac_f64_e32 v[8:9], v[2:3], v[6:7]
	v_fma_f64 v[10:11], -v[0:1], v[6:7], v[4:5]
	global_store_b128 v30, v[8:11], s[12:13] scale_offset
	s_cbranch_scc1 .LBB21_125
.LBB21_129:                             ;   Parent Loop BB21_120 Depth=1
                                        ;     Parent Loop BB21_123 Depth=2
                                        ;       Parent Loop BB21_126 Depth=3
                                        ; =>      This Inner Loop Header: Depth=4
	s_and_b32 vcc_lo, exec_lo, s9
	s_cbranch_vccz .LBB21_137
; %bb.130:                              ;   in Loop: Header=BB21_129 Depth=4
	s_wait_xcnt 0x0
	v_add_nc_u32_e32 v8, s26, v21
	v_mov_b32_e32 v9, v28
	s_cbranch_execnz .LBB21_132
.LBB21_131:                             ;   in Loop: Header=BB21_129 Depth=4
	v_dual_mov_b32 v9, v29 :: v_dual_add_nc_u32 v8, s23, v20
.LBB21_132:                             ;   in Loop: Header=BB21_129 Depth=4
	s_clause 0x1
	global_load_b128 v[0:3], v8, s[12:13] scale_offset
	global_load_b128 v[4:7], v9, s[12:13] scale_offset
	v_add_nc_u32_e32 v30, s26, v25
	s_and_b32 vcc_lo, exec_lo, s9
	s_cbranch_vccz .LBB21_138
; %bb.133:                              ;   in Loop: Header=BB21_129 Depth=4
	s_wait_xcnt 0x1
	v_add_nc_u32_e32 v8, s26, v25
	v_add_nc_u32_e32 v31, s23, v23
	s_cbranch_execnz .LBB21_135
.LBB21_134:                             ;   in Loop: Header=BB21_129 Depth=4
	s_wait_xcnt 0x1
	v_add_nc_u32_e32 v8, s23, v23
.LBB21_135:                             ;   in Loop: Header=BB21_129 Depth=4
	global_load_b128 v[8:11], v8, s[12:13] scale_offset
	s_and_b32 vcc_lo, exec_lo, s9
	s_cbranch_vccz .LBB21_139
; %bb.136:                              ;   in Loop: Header=BB21_129 Depth=4
	s_cbranch_execnz .LBB21_128
	s_branch .LBB21_140
.LBB21_137:                             ;   in Loop: Header=BB21_129 Depth=4
                                        ; implicit-def: $vgpr8
	s_wait_xcnt 0x0
	v_mov_b32_e32 v9, v28
	s_branch .LBB21_131
.LBB21_138:                             ;   in Loop: Header=BB21_129 Depth=4
                                        ; implicit-def: $vgpr8
	v_add_nc_u32_e32 v31, s23, v23
	s_branch .LBB21_134
.LBB21_139:                             ;   in Loop: Header=BB21_129 Depth=4
                                        ; implicit-def: $vgpr30
.LBB21_140:                             ;   in Loop: Header=BB21_129 Depth=4
	v_mov_b32_e32 v30, v31
	s_branch .LBB21_128
.LBB21_141:
	s_or_b32 exec_lo, exec_lo, s1
	s_delay_alu instid0(SALU_CYCLE_1)
	s_or_not1_b32 s2, s2, exec_lo
.LBB21_142:
	s_or_b32 exec_lo, exec_lo, s5
	v_cmp_eq_u32_e32 vcc_lo, 0, v26
	s_and_b32 exec_lo, exec_lo, vcc_lo
	s_cbranch_execz .LBB21_148
; %bb.143:
	v_lshl_add_u64 v[0:1], v[16:17], 2, s[20:21]
	v_mov_b32_e32 v2, 1
	global_wb scope:SCOPE_DEV
	s_wait_storecnt 0x0
	global_store_b32 v[0:1], v2, off scope:SCOPE_DEV
	s_wait_xcnt 0x0
	s_and_b32 exec_lo, exec_lo, s2
	s_cbranch_execz .LBB21_148
; %bb.144:
	v_add_nc_u32_e32 v0, s24, v16
	s_mov_b32 s1, exec_lo
	s_brev_b32 s0, -2
.LBB21_145:                             ; =>This Inner Loop Header: Depth=1
	s_ctz_i32_b32 s2, s1
	s_delay_alu instid0(VALU_DEP_1) | instid1(SALU_CYCLE_1)
	v_readlane_b32 s3, v0, s2
	s_lshl_b32 s2, 1, s2
	s_delay_alu instid0(SALU_CYCLE_1)
	s_and_not1_b32 s1, s1, s2
	s_min_i32 s0, s0, s3
	s_cmp_lg_u32 s1, 0
	s_cbranch_scc1 .LBB21_145
; %bb.146:
	v_mbcnt_lo_u32_b32 v0, exec_lo, 0
	s_mov_b32 s1, exec_lo
	s_delay_alu instid0(VALU_DEP_1)
	v_cmpx_eq_u32_e32 0, v0
	s_xor_b32 s1, exec_lo, s1
	s_cbranch_execz .LBB21_148
; %bb.147:
	v_dual_mov_b32 v0, 0 :: v_dual_mov_b32 v1, s0
	global_atomic_min_i32 v0, v1, s[6:7] scope:SCOPE_DEV
.LBB21_148:
	s_endpgm
	.section	.rodata,"a",@progbits
	.p2align	6, 0x0
	.amdhsa_kernel _ZN9rocsparseL15bsrilu0_generalILj128ELj64ELb1E21rocsparse_complex_numIdEEEv20rocsparse_direction_iPKiS5_PT2_S5_iPiS5_S8_21rocsparse_index_base_imNS_24const_host_device_scalarIfEENSA_IdEENSA_IS6_EEb
		.amdhsa_group_segment_fixed_size 0
		.amdhsa_private_segment_fixed_size 48
		.amdhsa_kernarg_size 124
		.amdhsa_user_sgpr_count 2
		.amdhsa_user_sgpr_dispatch_ptr 0
		.amdhsa_user_sgpr_queue_ptr 0
		.amdhsa_user_sgpr_kernarg_segment_ptr 1
		.amdhsa_user_sgpr_dispatch_id 0
		.amdhsa_user_sgpr_kernarg_preload_length 0
		.amdhsa_user_sgpr_kernarg_preload_offset 0
		.amdhsa_user_sgpr_private_segment_size 0
		.amdhsa_wavefront_size32 1
		.amdhsa_uses_dynamic_stack 0
		.amdhsa_enable_private_segment 1
		.amdhsa_system_sgpr_workgroup_id_x 1
		.amdhsa_system_sgpr_workgroup_id_y 0
		.amdhsa_system_sgpr_workgroup_id_z 0
		.amdhsa_system_sgpr_workgroup_info 0
		.amdhsa_system_vgpr_workitem_id 0
		.amdhsa_next_free_vgpr 48
		.amdhsa_next_free_sgpr 44
		.amdhsa_named_barrier_count 0
		.amdhsa_reserve_vcc 1
		.amdhsa_float_round_mode_32 0
		.amdhsa_float_round_mode_16_64 0
		.amdhsa_float_denorm_mode_32 3
		.amdhsa_float_denorm_mode_16_64 3
		.amdhsa_fp16_overflow 0
		.amdhsa_memory_ordered 1
		.amdhsa_forward_progress 1
		.amdhsa_inst_pref_size 39
		.amdhsa_round_robin_scheduling 0
		.amdhsa_exception_fp_ieee_invalid_op 0
		.amdhsa_exception_fp_denorm_src 0
		.amdhsa_exception_fp_ieee_div_zero 0
		.amdhsa_exception_fp_ieee_overflow 0
		.amdhsa_exception_fp_ieee_underflow 0
		.amdhsa_exception_fp_ieee_inexact 0
		.amdhsa_exception_int_div_zero 0
	.end_amdhsa_kernel
	.section	.text._ZN9rocsparseL15bsrilu0_generalILj128ELj64ELb1E21rocsparse_complex_numIdEEEv20rocsparse_direction_iPKiS5_PT2_S5_iPiS5_S8_21rocsparse_index_base_imNS_24const_host_device_scalarIfEENSA_IdEENSA_IS6_EEb,"axG",@progbits,_ZN9rocsparseL15bsrilu0_generalILj128ELj64ELb1E21rocsparse_complex_numIdEEEv20rocsparse_direction_iPKiS5_PT2_S5_iPiS5_S8_21rocsparse_index_base_imNS_24const_host_device_scalarIfEENSA_IdEENSA_IS6_EEb,comdat
.Lfunc_end21:
	.size	_ZN9rocsparseL15bsrilu0_generalILj128ELj64ELb1E21rocsparse_complex_numIdEEEv20rocsparse_direction_iPKiS5_PT2_S5_iPiS5_S8_21rocsparse_index_base_imNS_24const_host_device_scalarIfEENSA_IdEENSA_IS6_EEb, .Lfunc_end21-_ZN9rocsparseL15bsrilu0_generalILj128ELj64ELb1E21rocsparse_complex_numIdEEEv20rocsparse_direction_iPKiS5_PT2_S5_iPiS5_S8_21rocsparse_index_base_imNS_24const_host_device_scalarIfEENSA_IdEENSA_IS6_EEb
                                        ; -- End function
	.set _ZN9rocsparseL15bsrilu0_generalILj128ELj64ELb1E21rocsparse_complex_numIdEEEv20rocsparse_direction_iPKiS5_PT2_S5_iPiS5_S8_21rocsparse_index_base_imNS_24const_host_device_scalarIfEENSA_IdEENSA_IS6_EEb.num_vgpr, 48
	.set _ZN9rocsparseL15bsrilu0_generalILj128ELj64ELb1E21rocsparse_complex_numIdEEEv20rocsparse_direction_iPKiS5_PT2_S5_iPiS5_S8_21rocsparse_index_base_imNS_24const_host_device_scalarIfEENSA_IdEENSA_IS6_EEb.num_agpr, 0
	.set _ZN9rocsparseL15bsrilu0_generalILj128ELj64ELb1E21rocsparse_complex_numIdEEEv20rocsparse_direction_iPKiS5_PT2_S5_iPiS5_S8_21rocsparse_index_base_imNS_24const_host_device_scalarIfEENSA_IdEENSA_IS6_EEb.numbered_sgpr, 44
	.set _ZN9rocsparseL15bsrilu0_generalILj128ELj64ELb1E21rocsparse_complex_numIdEEEv20rocsparse_direction_iPKiS5_PT2_S5_iPiS5_S8_21rocsparse_index_base_imNS_24const_host_device_scalarIfEENSA_IdEENSA_IS6_EEb.num_named_barrier, 0
	.set _ZN9rocsparseL15bsrilu0_generalILj128ELj64ELb1E21rocsparse_complex_numIdEEEv20rocsparse_direction_iPKiS5_PT2_S5_iPiS5_S8_21rocsparse_index_base_imNS_24const_host_device_scalarIfEENSA_IdEENSA_IS6_EEb.private_seg_size, 48
	.set _ZN9rocsparseL15bsrilu0_generalILj128ELj64ELb1E21rocsparse_complex_numIdEEEv20rocsparse_direction_iPKiS5_PT2_S5_iPiS5_S8_21rocsparse_index_base_imNS_24const_host_device_scalarIfEENSA_IdEENSA_IS6_EEb.uses_vcc, 1
	.set _ZN9rocsparseL15bsrilu0_generalILj128ELj64ELb1E21rocsparse_complex_numIdEEEv20rocsparse_direction_iPKiS5_PT2_S5_iPiS5_S8_21rocsparse_index_base_imNS_24const_host_device_scalarIfEENSA_IdEENSA_IS6_EEb.uses_flat_scratch, 0
	.set _ZN9rocsparseL15bsrilu0_generalILj128ELj64ELb1E21rocsparse_complex_numIdEEEv20rocsparse_direction_iPKiS5_PT2_S5_iPiS5_S8_21rocsparse_index_base_imNS_24const_host_device_scalarIfEENSA_IdEENSA_IS6_EEb.has_dyn_sized_stack, 0
	.set _ZN9rocsparseL15bsrilu0_generalILj128ELj64ELb1E21rocsparse_complex_numIdEEEv20rocsparse_direction_iPKiS5_PT2_S5_iPiS5_S8_21rocsparse_index_base_imNS_24const_host_device_scalarIfEENSA_IdEENSA_IS6_EEb.has_recursion, 0
	.set _ZN9rocsparseL15bsrilu0_generalILj128ELj64ELb1E21rocsparse_complex_numIdEEEv20rocsparse_direction_iPKiS5_PT2_S5_iPiS5_S8_21rocsparse_index_base_imNS_24const_host_device_scalarIfEENSA_IdEENSA_IS6_EEb.has_indirect_call, 0
	.section	.AMDGPU.csdata,"",@progbits
; Kernel info:
; codeLenInByte = 4980
; TotalNumSgprs: 46
; NumVgprs: 48
; ScratchSize: 48
; MemoryBound: 0
; FloatMode: 240
; IeeeMode: 1
; LDSByteSize: 0 bytes/workgroup (compile time only)
; SGPRBlocks: 0
; VGPRBlocks: 2
; NumSGPRsForWavesPerEU: 46
; NumVGPRsForWavesPerEU: 48
; NamedBarCnt: 0
; Occupancy: 16
; WaveLimiterHint : 1
; COMPUTE_PGM_RSRC2:SCRATCH_EN: 1
; COMPUTE_PGM_RSRC2:USER_SGPR: 2
; COMPUTE_PGM_RSRC2:TRAP_HANDLER: 0
; COMPUTE_PGM_RSRC2:TGID_X_EN: 1
; COMPUTE_PGM_RSRC2:TGID_Y_EN: 0
; COMPUTE_PGM_RSRC2:TGID_Z_EN: 0
; COMPUTE_PGM_RSRC2:TIDIG_COMP_CNT: 0
	.section	.text._ZN9rocsparseL15bsrilu0_generalILj128ELj32ELb0E21rocsparse_complex_numIdEEEv20rocsparse_direction_iPKiS5_PT2_S5_iPiS5_S8_21rocsparse_index_base_imNS_24const_host_device_scalarIfEENSA_IdEENSA_IS6_EEb,"axG",@progbits,_ZN9rocsparseL15bsrilu0_generalILj128ELj32ELb0E21rocsparse_complex_numIdEEEv20rocsparse_direction_iPKiS5_PT2_S5_iPiS5_S8_21rocsparse_index_base_imNS_24const_host_device_scalarIfEENSA_IdEENSA_IS6_EEb,comdat
	.globl	_ZN9rocsparseL15bsrilu0_generalILj128ELj32ELb0E21rocsparse_complex_numIdEEEv20rocsparse_direction_iPKiS5_PT2_S5_iPiS5_S8_21rocsparse_index_base_imNS_24const_host_device_scalarIfEENSA_IdEENSA_IS6_EEb ; -- Begin function _ZN9rocsparseL15bsrilu0_generalILj128ELj32ELb0E21rocsparse_complex_numIdEEEv20rocsparse_direction_iPKiS5_PT2_S5_iPiS5_S8_21rocsparse_index_base_imNS_24const_host_device_scalarIfEENSA_IdEENSA_IS6_EEb
	.p2align	8
	.type	_ZN9rocsparseL15bsrilu0_generalILj128ELj32ELb0E21rocsparse_complex_numIdEEEv20rocsparse_direction_iPKiS5_PT2_S5_iPiS5_S8_21rocsparse_index_base_imNS_24const_host_device_scalarIfEENSA_IdEENSA_IS6_EEb,@function
_ZN9rocsparseL15bsrilu0_generalILj128ELj32ELb0E21rocsparse_complex_numIdEEEv20rocsparse_direction_iPKiS5_PT2_S5_iPiS5_S8_21rocsparse_index_base_imNS_24const_host_device_scalarIfEENSA_IdEENSA_IS6_EEb: ; @_ZN9rocsparseL15bsrilu0_generalILj128ELj32ELb0E21rocsparse_complex_numIdEEEv20rocsparse_direction_iPKiS5_PT2_S5_iPiS5_S8_21rocsparse_index_base_imNS_24const_host_device_scalarIfEENSA_IdEENSA_IS6_EEb
; %bb.0:
	s_clause 0x2
	s_load_b96 s[4:6], s[0:1], 0x70
	s_load_b64 s[24:25], s[0:1], 0x48
	s_load_b256 s[16:23], s[0:1], 0x50
	s_wait_kmcnt 0x0
	s_bitcmp1_b32 s6, 0
	s_cselect_b32 s2, -1, 0
	s_cmp_eq_u32 s25, 0
	v_mov_b64_e32 v[2:3], s[22:23]
	s_cselect_b32 s6, -1, 0
	s_cmp_lg_u32 s25, 0
	s_cselect_b32 s3, -1, 0
	s_or_b32 s9, s6, s2
	s_delay_alu instid0(SALU_CYCLE_1)
	s_xor_b32 s8, s9, -1
	s_and_b32 s6, s6, exec_lo
	s_cselect_b32 s7, 0, s21
	s_cselect_b32 s6, 0, s20
	;; [unrolled: 1-line block ×3, first 2 shown]
	s_and_b32 vcc_lo, exec_lo, s9
	scratch_store_b64 off, v[2:3], off offset:32
	s_cbranch_vccnz .LBB22_2
; %bb.1:
	s_load_b32 s25, s[18:19], 0x0
	s_mov_b64 s[6:7], s[20:21]
.LBB22_2:
	s_delay_alu instid0(SALU_CYCLE_1)
	v_mov_b64_e32 v[18:19], s[6:7]
	s_and_not1_b32 vcc_lo, exec_lo, s8
	s_cbranch_vccnz .LBB22_4
; %bb.3:
	v_mov_b32_e32 v1, 0
	flat_load_b64 v[18:19], v1, s[20:21]
.LBB22_4:
	s_wait_xcnt 0x0
	v_mov_b64_e32 v[2:3], 0
	v_mov_b64_e32 v[4:5], 0
	v_cndmask_b32_e64 v28, 0, 1, s3
	s_and_not1_b32 vcc_lo, exec_lo, s3
	s_cbranch_vccnz .LBB22_7
; %bb.5:
	v_mbcnt_lo_u32_b32 v1, -1, 0
	v_mov_b32_e32 v2, 32
	v_mov_b64_e32 v[4:5], s[4:5]
	s_delay_alu instid0(VALU_DEP_3) | instskip(NEXT) | instid1(VALU_DEP_1)
	v_lshlrev_b32_e32 v3, 20, v1
	v_add_nc_u64_e32 v[2:3], src_flat_scratch_base_lo, v[2:3]
	s_delay_alu instid0(VALU_DEP_1) | instskip(NEXT) | instid1(VALU_DEP_2)
	v_cndmask_b32_e64 v3, s23, v3, s2
	v_cndmask_b32_e64 v2, s22, v2, s2
	s_xor_b32 s2, s2, -1
	s_delay_alu instid0(SALU_CYCLE_1)
	s_and_not1_b32 vcc_lo, exec_lo, s2
	flat_load_b64 v[2:3], v[2:3]
	s_cbranch_vccnz .LBB22_7
; %bb.6:
	v_mov_b32_e32 v1, 0
	flat_load_b64 v[4:5], v1, s[22:23] offset:8
.LBB22_7:
	s_load_b64 s[18:19], s[0:1], 0x0
	s_bfe_u32 s2, ttmp6, 0x4000c
	s_and_b32 s3, ttmp6, 15
	s_add_co_i32 s2, s2, 1
	s_getreg_b32 s4, hwreg(HW_REG_IB_STS2, 6, 4)
	s_mul_i32 s2, ttmp9, s2
	v_lshrrev_b32_e32 v1, 5, v0
	s_add_co_i32 s3, s3, s2
	s_cmp_eq_u32 s4, 0
	s_wait_loadcnt_dscnt 0x0
	scratch_store_b128 off, v[2:5], off
	s_cselect_b32 s2, ttmp9, s3
	s_delay_alu instid0(SALU_CYCLE_1) | instskip(NEXT) | instid1(SALU_CYCLE_1)
	s_lshl_b32 s2, s2, 2
	v_and_or_b32 v1, 0x7fffffc, s2, v1
	s_mov_b32 s2, exec_lo
	s_wait_kmcnt 0x0
	s_delay_alu instid0(VALU_DEP_1)
	v_cmpx_gt_i32_e64 s19, v1
	s_cbranch_execz .LBB22_146
; %bb.8:
	s_clause 0x2
	s_load_b128 s[20:23], s[0:1], 0x30
	s_load_b64 s[6:7], s[0:1], 0x40
	s_load_b256 s[8:15], s[0:1], 0x8
	v_and_b32_e32 v26, 31, v0
	s_mov_b32 s2, -1
	s_mov_b32 s5, exec_lo
	s_wait_kmcnt 0x0
	global_load_b32 v16, v1, s[22:23] scale_offset
	s_wait_loadcnt 0x0
	global_load_b32 v29, v16, s[14:15] scale_offset
	v_ashrrev_i32_e32 v17, 31, v16
	s_wait_loadcnt 0x0
	v_cmpx_ne_u32_e32 -1, v29
	s_cbranch_execz .LBB22_140
; %bb.9:
	s_delay_alu instid0(VALU_DEP_2)
	v_lshl_add_u64 v[0:1], v[16:17], 2, s[8:9]
	s_load_b32 s22, s[0:1], 0x28
	s_mov_b32 s2, 0
	s_mov_b32 s23, exec_lo
	global_load_b64 v[0:1], v[0:1], off
	s_wait_loadcnt 0x0
	v_subrev_nc_u32_e32 v30, s24, v0
	v_subrev_nc_u32_e32 v27, s24, v1
	s_wait_xcnt 0x0
	s_delay_alu instid0(VALU_DEP_2)
	v_cmpx_lt_i32_e64 v30, v29
	s_cbranch_execz .LBB22_75
; %bb.10:
	s_wait_kmcnt 0x0
	v_mad_u32 v0, s22, v30, v26
	s_cmp_gt_i32 s22, 0
	v_cmp_gt_i32_e64 s0, s22, v26
	v_cmp_le_i32_e64 s1, s22, v26
	s_cselect_b32 s27, -1, 0
	s_cmp_lg_u32 s18, 0
	s_mov_b32 s34, 0
	s_mul_i32 s26, s22, s22
	s_cselect_b32 s28, -1, 0
	s_add_co_i32 s19, s19, 1
	s_add_co_i32 s29, s22, 1
	v_mul_lo_u32 v31, s22, v0
	v_add_nc_u32_e32 v20, v30, v26
	s_lshl_b32 s30, s22, 5
	s_add_co_i32 s31, s22, -1
	s_mov_b32 s33, 0
                                        ; implicit-def: $sgpr35
                                        ; implicit-def: $sgpr36
	s_delay_alu instid0(VALU_DEP_1) | instskip(NEXT) | instid1(VALU_DEP_1)
	v_ashrrev_i32_e32 v21, 31, v20
	v_lshl_add_u64 v[22:23], v[20:21], 2, s[10:11]
	s_delay_alu instid0(VALU_DEP_4)
	v_add_nc_u32_e32 v21, 1, v31
	v_cmp_lt_i32_e64 s2, v20, v27
	s_branch .LBB22_13
.LBB22_11:                              ;   in Loop: Header=BB22_13 Depth=1
	s_or_b32 exec_lo, exec_lo, s4
	s_delay_alu instid0(SALU_CYCLE_1) | instskip(SKIP_1) | instid1(SALU_CYCLE_1)
	s_and_not1_b32 s4, s36, exec_lo
	s_and_b32 s34, s34, exec_lo
	s_or_b32 s36, s4, s34
.LBB22_12:                              ;   in Loop: Header=BB22_13 Depth=1
	s_or_b32 exec_lo, exec_lo, s37
	v_dual_add_nc_u32 v30, 1, v30 :: v_dual_add_nc_u32 v21, s26, v21
	s_xor_b32 s3, s3, -1
	v_add_nc_u32_e32 v31, s26, v31
	s_mov_b32 s34, s36
	s_delay_alu instid0(VALU_DEP_2) | instskip(SKIP_1) | instid1(SALU_CYCLE_1)
	v_cmp_ge_i32_e32 vcc_lo, v30, v29
	s_or_b32 s3, s3, vcc_lo
	s_and_b32 s3, exec_lo, s3
	s_delay_alu instid0(SALU_CYCLE_1) | instskip(SKIP_2) | instid1(SALU_CYCLE_1)
	s_or_b32 s33, s3, s33
	s_and_not1_b32 s3, s35, exec_lo
	s_and_b32 s4, s36, exec_lo
	s_or_b32 s35, s3, s4
	s_and_not1_b32 exec_lo, exec_lo, s33
	s_cbranch_execz .LBB22_74
.LBB22_13:                              ; =>This Loop Header: Depth=1
                                        ;     Child Loop BB22_16 Depth 2
                                        ;     Child Loop BB22_21 Depth 2
                                        ;       Child Loop BB22_26 Depth 3
                                        ;         Child Loop BB22_35 Depth 4
                                        ;     Child Loop BB22_48 Depth 2
                                        ;       Child Loop BB22_53 Depth 3
                                        ;       Child Loop BB22_60 Depth 3
                                        ;         Child Loop BB22_62 Depth 4
                                        ;           Child Loop BB22_64 Depth 5
	s_wait_dscnt 0x0
	global_load_b32 v0, v30, s[10:11] scale_offset
	s_or_b32 s36, s36, exec_lo
	s_wait_loadcnt 0x0
	v_subrev_nc_u32_e32 v0, s24, v0
	global_load_b32 v33, v0, s[14:15] scale_offset
	s_wait_loadcnt 0x0
	v_cmp_ne_u32_e64 s3, -1, v33
	s_wait_xcnt 0x0
	s_and_saveexec_b32 s37, s3
	s_cbranch_execz .LBB22_12
; %bb.14:                               ;   in Loop: Header=BB22_13 Depth=1
	v_ashrrev_i32_e32 v1, 31, v0
	s_mov_b32 s4, exec_lo
	s_delay_alu instid0(VALU_DEP_1) | instskip(NEXT) | instid1(VALU_DEP_1)
	v_lshlrev_b64_e32 v[0:1], 2, v[0:1]
	v_add_nc_u64_e32 v[2:3], s[8:9], v[0:1]
	v_add_nc_u64_e32 v[0:1], s[20:21], v[0:1]
	global_load_b32 v34, v[2:3], off offset:4
	global_load_b32 v4, v[0:1], off scope:SCOPE_DEV
	s_wait_loadcnt 0x0
	s_wait_xcnt 0x0
	v_cmpx_eq_u32_e32 0, v4
	s_cbranch_execz .LBB22_17
; %bb.15:                               ;   in Loop: Header=BB22_13 Depth=1
	s_mov_b32 s38, 0
.LBB22_16:                              ;   Parent Loop BB22_13 Depth=1
                                        ; =>  This Inner Loop Header: Depth=2
	global_load_b32 v2, v[0:1], off scope:SCOPE_DEV
	s_wait_loadcnt 0x0
	v_cmp_ne_u32_e32 vcc_lo, 0, v2
	s_or_b32 s38, vcc_lo, s38
	s_wait_xcnt 0x0
	s_and_not1_b32 exec_lo, exec_lo, s38
	s_cbranch_execnz .LBB22_16
.LBB22_17:                              ;   in Loop: Header=BB22_13 Depth=1
	s_or_b32 exec_lo, exec_lo, s4
	v_mul_lo_u32 v32, v30, s22
	s_and_not1_b32 vcc_lo, exec_lo, s27
	s_wait_storecnt 0x0
	global_inv scope:SCOPE_DEV
	s_cbranch_vccnz .LBB22_44
; %bb.18:                               ;   in Loop: Header=BB22_13 Depth=1
	v_mul_lo_u32 v35, v33, s22
	v_mad_u32 v36, s26, v33, 1
	v_dual_mov_b32 v37, 0 :: v_dual_mov_b32 v38, v21
	s_mov_b32 s38, 0
	s_mov_b32 s39, s31
	s_branch .LBB22_21
.LBB22_19:                              ;   in Loop: Header=BB22_21 Depth=2
	s_or_b32 exec_lo, exec_lo, s41
	v_mov_b32_e32 v37, v39
.LBB22_20:                              ;   in Loop: Header=BB22_21 Depth=2
	s_or_b32 exec_lo, exec_lo, s40
	s_delay_alu instid0(VALU_DEP_1) | instskip(SKIP_3) | instid1(SALU_CYCLE_1)
	v_cmp_eq_u32_e32 vcc_lo, s22, v37
	v_dual_add_nc_u32 v36, s29, v36 :: v_dual_add_nc_u32 v38, 1, v38
	s_add_co_i32 s39, s39, -1
	s_or_b32 s38, vcc_lo, s38
	s_and_not1_b32 exec_lo, exec_lo, s38
	s_cbranch_execz .LBB22_43
.LBB22_21:                              ;   Parent Loop BB22_13 Depth=1
                                        ; =>  This Loop Header: Depth=2
                                        ;       Child Loop BB22_26 Depth 3
                                        ;         Child Loop BB22_35 Depth 4
	s_delay_alu instid0(VALU_DEP_1) | instskip(SKIP_1) | instid1(SALU_CYCLE_1)
	v_add_nc_u32_e32 v39, 1, v37
	s_and_saveexec_b32 s4, s1
	s_xor_b32 s4, exec_lo, s4
; %bb.22:                               ;   in Loop: Header=BB22_21 Depth=2
	v_add_nc_u32_e32 v37, 1, v37
                                        ; implicit-def: $vgpr39
; %bb.23:                               ;   in Loop: Header=BB22_21 Depth=2
	s_and_not1_saveexec_b32 s40, s4
	s_cbranch_execz .LBB22_20
; %bb.24:                               ;   in Loop: Header=BB22_21 Depth=2
	s_delay_alu instid0(VALU_DEP_1)
	v_add_nc_u32_e32 v0, v37, v35
	v_cmp_gt_i32_e64 s4, s22, v39
	v_mov_b32_e32 v42, v26
	s_mov_b32 s41, 0
	v_mov_b32_e32 v41, v38
	v_mad_u32 v0, v0, s22, v37
	global_load_b128 v[0:3], v0, s[12:13] scale_offset
	s_wait_loadcnt 0x0
	v_mul_f64_e32 v[4:5], v[2:3], v[2:3]
	s_delay_alu instid0(VALU_DEP_1) | instskip(NEXT) | instid1(VALU_DEP_1)
	v_fmac_f64_e32 v[4:5], v[0:1], v[0:1]
	v_div_scale_f64 v[6:7], null, v[4:5], v[4:5], 1.0
	s_delay_alu instid0(VALU_DEP_1) | instskip(SKIP_1) | instid1(TRANS32_DEP_1)
	v_rcp_f64_e32 v[8:9], v[6:7]
	v_nop
	v_fma_f64 v[10:11], -v[6:7], v[8:9], 1.0
	s_delay_alu instid0(VALU_DEP_1) | instskip(NEXT) | instid1(VALU_DEP_1)
	v_fmac_f64_e32 v[8:9], v[8:9], v[10:11]
	v_fma_f64 v[10:11], -v[6:7], v[8:9], 1.0
	s_delay_alu instid0(VALU_DEP_1) | instskip(SKIP_1) | instid1(VALU_DEP_1)
	v_fmac_f64_e32 v[8:9], v[8:9], v[10:11]
	v_div_scale_f64 v[10:11], vcc_lo, 1.0, v[4:5], 1.0
	v_mul_f64_e32 v[12:13], v[10:11], v[8:9]
	s_delay_alu instid0(VALU_DEP_1) | instskip(NEXT) | instid1(VALU_DEP_1)
	v_fma_f64 v[6:7], -v[6:7], v[12:13], v[10:11]
	v_div_fmas_f64 v[6:7], v[6:7], v[8:9], v[12:13]
	s_delay_alu instid0(VALU_DEP_1) | instskip(SKIP_1) | instid1(VALU_DEP_1)
	v_div_fixup_f64 v[24:25], v[6:7], v[4:5], 1.0
	v_add_nc_u32_e32 v4, v37, v32
	v_mul_lo_u32 v40, v4, s22
	s_branch .LBB22_26
.LBB22_25:                              ;   in Loop: Header=BB22_26 Depth=3
	s_wait_xcnt 0x0
	s_or_b32 exec_lo, exec_lo, s42
	v_dual_add_nc_u32 v42, 32, v42 :: v_dual_add_nc_u32 v41, s30, v41
	s_delay_alu instid0(VALU_DEP_1) | instskip(SKIP_1) | instid1(SALU_CYCLE_1)
	v_cmp_le_i32_e32 vcc_lo, s22, v42
	s_or_b32 s41, vcc_lo, s41
	s_and_not1_b32 exec_lo, exec_lo, s41
	s_cbranch_execz .LBB22_19
.LBB22_26:                              ;   Parent Loop BB22_13 Depth=1
                                        ;     Parent Loop BB22_21 Depth=2
                                        ; =>    This Loop Header: Depth=3
                                        ;         Child Loop BB22_35 Depth 4
	s_delay_alu instid0(VALU_DEP_1)
	v_add_nc_u32_e32 v8, v42, v40
	s_and_b32 vcc_lo, exec_lo, s28
	s_cbranch_vccz .LBB22_41
; %bb.27:                               ;   in Loop: Header=BB22_26 Depth=3
	v_add_nc_u32_e32 v4, v42, v40
	v_add_nc_u32_e32 v5, v42, v32
	s_delay_alu instid0(VALU_DEP_1)
	v_mad_u32 v9, v5, s22, v37
	s_cbranch_execnz .LBB22_29
.LBB22_28:                              ;   in Loop: Header=BB22_26 Depth=3
	v_mad_u32 v4, v5, s22, v37
.LBB22_29:                              ;   in Loop: Header=BB22_26 Depth=3
	global_load_b128 v[4:7], v4, s[12:13] scale_offset
	s_and_b32 vcc_lo, exec_lo, s28
	s_cbranch_vccz .LBB22_42
; %bb.30:                               ;   in Loop: Header=BB22_26 Depth=3
	s_cbranch_execnz .LBB22_32
.LBB22_31:                              ;   in Loop: Header=BB22_26 Depth=3
	v_mov_b32_e32 v8, v9
.LBB22_32:                              ;   in Loop: Header=BB22_26 Depth=3
	s_wait_loadcnt 0x0
	v_mul_f64_e32 v[10:11], v[2:3], v[6:7]
	v_mul_f64_e64 v[12:13], v[2:3], -v[4:5]
	s_delay_alu instid0(VALU_DEP_2) | instskip(NEXT) | instid1(VALU_DEP_2)
	v_fmac_f64_e32 v[10:11], v[4:5], v[0:1]
	v_fmac_f64_e32 v[12:13], v[6:7], v[0:1]
	s_wait_xcnt 0x0
	s_delay_alu instid0(VALU_DEP_2) | instskip(NEXT) | instid1(VALU_DEP_2)
	v_mul_f64_e32 v[4:5], v[24:25], v[10:11]
	v_mul_f64_e32 v[6:7], v[24:25], v[12:13]
	global_store_b128 v8, v[4:7], s[12:13] scale_offset
	s_wait_xcnt 0x0
	s_and_saveexec_b32 s42, s4
	s_cbranch_execz .LBB22_25
; %bb.33:                               ;   in Loop: Header=BB22_26 Depth=3
	v_dual_mov_b32 v43, v41 :: v_dual_mov_b32 v44, v36
	v_mov_b32_e32 v45, v39
	s_mov_b32 s43, s39
	s_branch .LBB22_35
.LBB22_34:                              ;   in Loop: Header=BB22_35 Depth=4
	s_wait_loadcnt 0x0
	s_wait_xcnt 0x0
	v_dual_fma_f64 v[12:13], -v[4:5], v[8:9], v[12:13] :: v_dual_add_nc_u32 v43, 1, v43
	v_fma_f64 v[8:9], -v[6:7], v[8:9], v[14:15]
	v_add_nc_u32_e32 v44, 1, v44
	s_add_co_i32 s43, s43, -1
	v_add_nc_u32_e32 v45, 1, v45
	s_cmp_eq_u32 s43, 0
	s_delay_alu instid0(VALU_DEP_4) | instskip(NEXT) | instid1(VALU_DEP_4)
	v_fmac_f64_e32 v[12:13], v[6:7], v[10:11]
	v_fma_f64 v[14:15], -v[4:5], v[10:11], v[8:9]
	global_store_b128 v46, v[12:15], s[12:13] scale_offset
	s_cbranch_scc1 .LBB22_25
.LBB22_35:                              ;   Parent Loop BB22_13 Depth=1
                                        ;     Parent Loop BB22_21 Depth=2
                                        ;       Parent Loop BB22_26 Depth=3
                                        ; =>      This Inner Loop Header: Depth=4
	s_delay_alu instid0(VALU_DEP_2)
	v_mov_b32_e32 v8, v44
	s_and_not1_b32 vcc_lo, exec_lo, s28
	s_cbranch_vccnz .LBB22_37
; %bb.36:                               ;   in Loop: Header=BB22_35 Depth=4
	v_add_nc_u32_e32 v8, v45, v35
	s_delay_alu instid0(VALU_DEP_1)
	v_mad_u32 v8, v8, s22, v37
.LBB22_37:                              ;   in Loop: Header=BB22_35 Depth=4
	global_load_b128 v[8:11], v8, s[12:13] scale_offset
	s_wait_xcnt 0x1
	v_dual_mov_b32 v13, v43 :: v_dual_add_nc_u32 v12, v45, v32
	s_and_not1_b32 vcc_lo, exec_lo, s28
	s_delay_alu instid0(VALU_DEP_1)
	v_mad_u32 v47, v12, s22, v42
	s_cbranch_vccnz .LBB22_39
; %bb.38:                               ;   in Loop: Header=BB22_35 Depth=4
	v_mad_u32 v13, v12, s22, v42
.LBB22_39:                              ;   in Loop: Header=BB22_35 Depth=4
	global_load_b128 v[12:15], v13, s[12:13] scale_offset
	v_mov_b32_e32 v46, v43
	s_and_not1_b32 vcc_lo, exec_lo, s28
	s_cbranch_vccnz .LBB22_34
; %bb.40:                               ;   in Loop: Header=BB22_35 Depth=4
	v_mov_b32_e32 v46, v47
	s_branch .LBB22_34
.LBB22_41:                              ;   in Loop: Header=BB22_26 Depth=3
                                        ; implicit-def: $vgpr4
	v_add_nc_u32_e32 v5, v42, v32
	s_delay_alu instid0(VALU_DEP_1)
	v_mad_u32 v9, v5, s22, v37
	s_branch .LBB22_28
.LBB22_42:                              ;   in Loop: Header=BB22_26 Depth=3
                                        ; implicit-def: $vgpr8
	s_branch .LBB22_31
.LBB22_43:                              ;   in Loop: Header=BB22_13 Depth=1
	s_or_b32 exec_lo, exec_lo, s38
.LBB22_44:                              ;   in Loop: Header=BB22_13 Depth=1
	v_subrev_nc_u32_e32 v8, s24, v34
	v_add_nc_u32_e32 v9, 1, v33
	s_mov_b32 s4, exec_lo
	s_delay_alu instid0(VALU_DEP_1)
	v_cmpx_lt_i32_e64 v9, v8
	s_cbranch_execz .LBB22_11
; %bb.45:                               ;   in Loop: Header=BB22_13 Depth=1
	v_mul_lo_u32 v10, s26, v9
	s_mov_b32 s38, 0
	s_branch .LBB22_48
.LBB22_46:                              ;   in Loop: Header=BB22_48 Depth=2
	s_or_b32 exec_lo, exec_lo, s39
.LBB22_47:                              ;   in Loop: Header=BB22_48 Depth=2
	v_dual_add_nc_u32 v9, 1, v9 :: v_dual_add_nc_u32 v10, s26, v10
	s_delay_alu instid0(VALU_DEP_1) | instskip(SKIP_1) | instid1(SALU_CYCLE_1)
	v_cmp_ge_i32_e32 vcc_lo, v9, v8
	s_or_b32 s38, vcc_lo, s38
	s_and_not1_b32 exec_lo, exec_lo, s38
	s_cbranch_execz .LBB22_11
.LBB22_48:                              ;   Parent Loop BB22_13 Depth=1
                                        ; =>  This Loop Header: Depth=2
                                        ;       Child Loop BB22_53 Depth 3
                                        ;       Child Loop BB22_60 Depth 3
                                        ;         Child Loop BB22_62 Depth 4
                                        ;           Child Loop BB22_64 Depth 5
	s_wait_dscnt 0x0
	global_load_b32 v0, v9, s[10:11] scale_offset
	v_mov_b32_e32 v1, s19
	s_wait_xcnt 0x0
	s_and_saveexec_b32 s39, s2
	s_cbranch_execz .LBB22_50
; %bb.49:                               ;   in Loop: Header=BB22_48 Depth=2
	global_load_b32 v1, v[22:23], off
	s_wait_loadcnt 0x0
	v_subrev_nc_u32_e32 v1, s24, v1
.LBB22_50:                              ;   in Loop: Header=BB22_48 Depth=2
	s_wait_xcnt 0x0
	s_or_b32 exec_lo, exec_lo, s39
	s_wait_loadcnt 0x0
	v_subrev_nc_u32_e32 v0, s24, v0
	v_mov_b32_e32 v2, v20
	s_mov_b32 s39, exec_lo
	s_delay_alu instid0(VALU_DEP_2)
	v_cmpx_lt_i32_e64 v1, v0
	s_cbranch_execz .LBB22_56
; %bb.51:                               ;   in Loop: Header=BB22_48 Depth=2
	v_mov_b32_e32 v3, v20
	s_mov_b32 s40, 0
	s_branch .LBB22_53
.LBB22_52:                              ;   in Loop: Header=BB22_53 Depth=3
	s_wait_xcnt 0x0
	s_or_b32 exec_lo, exec_lo, s41
	s_delay_alu instid0(VALU_DEP_1) | instskip(SKIP_2) | instid1(SALU_CYCLE_1)
	v_cmp_ge_i32_e32 vcc_lo, v1, v0
	v_mov_b32_e32 v3, v2
	s_or_b32 s40, vcc_lo, s40
	s_and_not1_b32 exec_lo, exec_lo, s40
	s_cbranch_execz .LBB22_55
.LBB22_53:                              ;   Parent Loop BB22_13 Depth=1
                                        ;     Parent Loop BB22_48 Depth=2
                                        ; =>    This Inner Loop Header: Depth=3
	s_delay_alu instid0(VALU_DEP_1) | instskip(SKIP_1) | instid1(VALU_DEP_1)
	v_dual_mov_b32 v1, s19 :: v_dual_add_nc_u32 v2, 32, v3
	s_mov_b32 s41, exec_lo
	v_cmpx_lt_i32_e64 v2, v27
	s_cbranch_execz .LBB22_52
; %bb.54:                               ;   in Loop: Header=BB22_53 Depth=3
	global_load_b32 v1, v3, s[10:11] offset:128 scale_offset
	s_wait_loadcnt 0x0
	v_subrev_nc_u32_e32 v1, s24, v1
	s_branch .LBB22_52
.LBB22_55:                              ;   in Loop: Header=BB22_48 Depth=2
	s_or_b32 exec_lo, exec_lo, s40
.LBB22_56:                              ;   in Loop: Header=BB22_48 Depth=2
	s_delay_alu instid0(SALU_CYCLE_1)
	s_or_b32 exec_lo, exec_lo, s39
	v_cmp_eq_u32_e32 vcc_lo, v1, v0
	s_cbranch_vccz .LBB22_47
; %bb.57:                               ;   in Loop: Header=BB22_48 Depth=2
	s_ctz_i32_b32 s39, vcc_lo
	s_delay_alu instid0(SALU_CYCLE_1) | instskip(NEXT) | instid1(SALU_CYCLE_1)
	s_lshl_b32 s39, s39, 2
	v_mov_b32_e32 v0, s39
	ds_bpermute_b32 v0, v0, v2
	s_and_saveexec_b32 s39, s0
	s_cbranch_execz .LBB22_46
; %bb.58:                               ;   in Loop: Header=BB22_48 Depth=2
	v_mul_lo_u32 v11, v9, s22
	s_wait_dscnt 0x0
	v_mul_lo_u32 v12, v0, s22
	v_dual_mov_b32 v13, v31 :: v_dual_mov_b32 v14, v26
	s_mov_b32 s40, 0
	s_branch .LBB22_60
.LBB22_59:                              ;   in Loop: Header=BB22_60 Depth=3
	v_dual_add_nc_u32 v14, 32, v14 :: v_dual_add_nc_u32 v13, s30, v13
	s_delay_alu instid0(VALU_DEP_1)
	v_cmp_le_i32_e32 vcc_lo, s22, v14
	s_or_b32 s40, vcc_lo, s40
	s_wait_xcnt 0x0
	s_and_not1_b32 exec_lo, exec_lo, s40
	s_cbranch_execz .LBB22_46
.LBB22_60:                              ;   Parent Loop BB22_13 Depth=1
                                        ;     Parent Loop BB22_48 Depth=2
                                        ; =>    This Loop Header: Depth=3
                                        ;         Child Loop BB22_62 Depth 4
                                        ;           Child Loop BB22_64 Depth 5
	s_delay_alu instid0(VALU_DEP_1) | instskip(SKIP_2) | instid1(VALU_DEP_2)
	v_add_nc_u32_e32 v0, v14, v12
	v_mov_b32_e32 v24, v10
	s_mov_b32 s41, 0
	v_mul_lo_u32 v15, v0, s22
	s_branch .LBB22_62
.LBB22_61:                              ;   in Loop: Header=BB22_62 Depth=4
	global_load_b128 v[34:37], v0, s[12:13] scale_offset
	s_add_co_i32 s41, s41, 1
	v_add_nc_u32_e32 v24, 1, v24
	s_cmp_eq_u32 s41, s22
	s_wait_loadcnt 0x0
	v_add_f64_e64 v[2:3], v[34:35], -v[4:5]
	v_add_f64_e64 v[4:5], v[36:37], -v[6:7]
	global_store_b128 v0, v[2:5], s[12:13] scale_offset
	s_cbranch_scc1 .LBB22_59
.LBB22_62:                              ;   Parent Loop BB22_13 Depth=1
                                        ;     Parent Loop BB22_48 Depth=2
                                        ;       Parent Loop BB22_60 Depth=3
                                        ; =>      This Loop Header: Depth=4
                                        ;           Child Loop BB22_64 Depth 5
	s_wait_xcnt 0x0
	v_dual_mov_b32 v33, v24 :: v_dual_add_nc_u32 v0, s41, v11
	v_mov_b64_e32 v[4:5], 0
	v_mov_b64_e32 v[6:7], 0
	s_mov_b32 s42, 0
	s_delay_alu instid0(VALU_DEP_3)
	v_mul_lo_u32 v25, v0, s22
	s_branch .LBB22_64
.LBB22_63:                              ;   in Loop: Header=BB22_64 Depth=5
	global_load_b128 v[34:37], v34, s[12:13] scale_offset
	v_add_nc_u32_e32 v33, s22, v33
	s_add_co_i32 s42, s42, 1
	s_delay_alu instid0(SALU_CYCLE_1) | instskip(SKIP_3) | instid1(VALU_DEP_2)
	s_cmp_eq_u32 s22, s42
	s_wait_loadcnt 0x0
	v_fmac_f64_e32 v[4:5], v[0:1], v[34:35]
	v_fmac_f64_e32 v[6:7], v[2:3], v[34:35]
	v_fma_f64 v[4:5], -v[2:3], v[36:37], v[4:5]
	s_delay_alu instid0(VALU_DEP_2)
	v_fmac_f64_e32 v[6:7], v[0:1], v[36:37]
	s_cbranch_scc1 .LBB22_70
.LBB22_64:                              ;   Parent Loop BB22_13 Depth=1
                                        ;     Parent Loop BB22_48 Depth=2
                                        ;       Parent Loop BB22_60 Depth=3
                                        ;         Parent Loop BB22_62 Depth=4
                                        ; =>        This Inner Loop Header: Depth=5
	s_and_b32 vcc_lo, exec_lo, s28
	s_cbranch_vccz .LBB22_69
; %bb.65:                               ;   in Loop: Header=BB22_64 Depth=5
	s_wait_xcnt 0x1
	v_add_nc_u32_e32 v0, s42, v32
	s_delay_alu instid0(VALU_DEP_1)
	v_mad_u32 v0, v0, s22, v14
	s_cbranch_execnz .LBB22_67
.LBB22_66:                              ;   in Loop: Header=BB22_64 Depth=5
	s_wait_xcnt 0x1
	v_add_nc_u32_e32 v0, s42, v13
.LBB22_67:                              ;   in Loop: Header=BB22_64 Depth=5
	global_load_b128 v[0:3], v0, s[12:13] scale_offset
	s_wait_xcnt 0x1
	v_mov_b32_e32 v34, v33
	s_and_not1_b32 vcc_lo, exec_lo, s28
	s_cbranch_vccnz .LBB22_63
; %bb.68:                               ;   in Loop: Header=BB22_64 Depth=5
	v_add_nc_u32_e32 v34, s42, v25
	s_branch .LBB22_63
.LBB22_69:                              ;   in Loop: Header=BB22_64 Depth=5
                                        ; implicit-def: $vgpr0
	s_branch .LBB22_66
.LBB22_70:                              ;   in Loop: Header=BB22_62 Depth=4
	s_and_b32 vcc_lo, exec_lo, s28
	s_cbranch_vccz .LBB22_72
; %bb.71:                               ;   in Loop: Header=BB22_62 Depth=4
	s_wait_xcnt 0x1
	v_add_nc_u32_e32 v0, s41, v12
	s_delay_alu instid0(VALU_DEP_1)
	v_mad_u32 v0, v0, s22, v14
	s_cbranch_execnz .LBB22_61
	s_branch .LBB22_73
.LBB22_72:                              ;   in Loop: Header=BB22_62 Depth=4
                                        ; implicit-def: $vgpr0
.LBB22_73:                              ;   in Loop: Header=BB22_62 Depth=4
	s_wait_xcnt 0x1
	v_add_nc_u32_e32 v0, s41, v15
	s_branch .LBB22_61
.LBB22_74:
	s_or_b32 exec_lo, exec_lo, s33
	s_delay_alu instid0(SALU_CYCLE_1)
	s_and_b32 s2, s35, exec_lo
.LBB22_75:
	s_or_b32 exec_lo, exec_lo, s23
	s_wait_dscnt 0x0
	global_load_b32 v0, v29, s[10:11] scale_offset
	s_wait_kmcnt 0x0
	s_cmp_gt_i32 s22, 0
	s_mov_b32 s8, 0
	s_cselect_b32 s3, -1, 0
	s_wait_loadcnt 0x0
	v_subrev_nc_u32_e32 v0, s24, v0
	s_delay_alu instid0(VALU_DEP_1)
	v_cmp_eq_u32_e32 vcc_lo, v0, v16
	s_and_b32 s0, s3, vcc_lo
	s_wait_xcnt 0x0
	s_and_saveexec_b32 s4, s0
	s_cbranch_execz .LBB22_115
; %bb.76:
	v_cvt_f64_f32_e32 v[0:1], s25
	v_mul_lo_u32 v22, v29, s22
	s_cmp_eq_u64 s[16:17], 8
	s_mul_i32 s0, s22, s22
	s_cselect_b32 vcc_lo, -1, 0
	s_cmp_lg_u32 s18, 0
	v_mad_u32 v23, v29, s0, 1
	s_cselect_b32 s9, -1, 0
	s_add_co_i32 s10, s22, 1
	v_cmp_eq_u32_e64 s0, 0, v26
	v_dual_mov_b32 v25, 0 :: v_dual_mov_b32 v30, 0
	s_delay_alu instid0(VALU_DEP_4) | instskip(SKIP_3) | instid1(VALU_DEP_1)
	v_add_nc_u32_e32 v2, v22, v26
	s_lshl_b32 s11, s22, 5
	s_add_co_i32 s14, s22, -1
	s_mov_b32 s16, s2
                                        ; implicit-def: $sgpr15
	v_mad_u32 v24, s22, v2, s10
	v_dual_cndmask_b32 v19, v1, v19 :: v_dual_cndmask_b32 v18, v0, v18
	s_branch .LBB22_78
.LBB22_77:                              ;   in Loop: Header=BB22_78 Depth=1
	s_or_b32 exec_lo, exec_lo, s1
	s_delay_alu instid0(VALU_DEP_1)
	v_cmp_eq_u32_e32 vcc_lo, s22, v32
	s_add_co_i32 s14, s14, -1
	v_dual_add_nc_u32 v23, s10, v23 :: v_dual_add_nc_u32 v24, s10, v24
	v_mov_b32_e32 v30, v32
	s_or_b32 s8, vcc_lo, s8
	s_and_not1_b32 s1, s15, exec_lo
	s_and_b32 s15, s16, exec_lo
	s_delay_alu instid0(SALU_CYCLE_1)
	s_or_b32 s15, s1, s15
	s_and_not1_b32 exec_lo, exec_lo, s8
	s_cbranch_execz .LBB22_114
.LBB22_78:                              ; =>This Loop Header: Depth=1
                                        ;     Child Loop BB22_94 Depth 2
                                        ;       Child Loop BB22_103 Depth 3
	v_add_nc_u32_e32 v0, v30, v22
	v_cmp_ne_u32_e32 vcc_lo, 1, v28
	s_mov_b32 s17, 0
	s_mov_b32 s19, 0
	s_mov_b32 s1, -1
	v_mul_lo_u32 v31, v0, s22
	s_and_b32 vcc_lo, exec_lo, vcc_lo
	s_delay_alu instid0(VALU_DEP_1)
	v_add_nc_u32_e32 v4, v31, v30
	global_load_b128 v[0:3], v4, s[12:13] scale_offset
	s_wait_loadcnt 0x0
	scratch_store_b128 off, v[0:3], off offset:16
	s_cbranch_vccz .LBB22_81
; %bb.79:                               ;   in Loop: Header=BB22_78 Depth=1
	s_and_b32 vcc_lo, exec_lo, s1
	s_cbranch_vccnz .LBB22_90
.LBB22_80:                              ;   in Loop: Header=BB22_78 Depth=1
                                        ; implicit-def: $vgpr32
	s_wait_xcnt 0x0
	s_and_saveexec_b32 s1, s19
	s_delay_alu instid0(SALU_CYCLE_1)
	s_xor_b32 s19, exec_lo, s1
	s_cbranch_execnz .LBB22_91
	s_branch .LBB22_112
.LBB22_81:                              ;   in Loop: Header=BB22_78 Depth=1
	v_cmp_gt_f64_e32 vcc_lo, 0, v[0:1]
	v_xor_b32_e32 v5, 0x80000000, v1
	v_mov_b32_e32 v6, v0
	v_xor_b32_e32 v8, 0x80000000, v3
	s_mov_b32 s1, exec_lo
                                        ; implicit-def: $vgpr10_vgpr11
	s_delay_alu instid0(VALU_DEP_3) | instskip(SKIP_1) | instid1(VALU_DEP_3)
	v_cndmask_b32_e32 v7, v1, v5, vcc_lo
	v_cmp_gt_f64_e32 vcc_lo, 0, v[2:3]
	v_dual_cndmask_b32 v9, v3, v8 :: v_dual_mov_b32 v8, v2
	s_wait_xcnt 0x0
	s_delay_alu instid0(VALU_DEP_1)
	v_cmpx_ngt_f64_e32 v[6:7], v[8:9]
	s_xor_b32 s1, exec_lo, s1
	s_cbranch_execz .LBB22_85
; %bb.82:                               ;   in Loop: Header=BB22_78 Depth=1
	v_mov_b64_e32 v[10:11], 0
	s_mov_b32 s19, exec_lo
	v_cmpx_neq_f64_e32 0, v[2:3]
	s_cbranch_execz .LBB22_84
; %bb.83:                               ;   in Loop: Header=BB22_78 Depth=1
	v_div_scale_f64 v[10:11], null, v[8:9], v[8:9], v[6:7]
	v_div_scale_f64 v[20:21], vcc_lo, v[6:7], v[8:9], v[6:7]
	s_delay_alu instid0(VALU_DEP_2) | instskip(SKIP_1) | instid1(TRANS32_DEP_1)
	v_rcp_f64_e32 v[12:13], v[10:11]
	v_nop
	v_fma_f64 v[14:15], -v[10:11], v[12:13], 1.0
	s_delay_alu instid0(VALU_DEP_1) | instskip(NEXT) | instid1(VALU_DEP_1)
	v_fmac_f64_e32 v[12:13], v[12:13], v[14:15]
	v_fma_f64 v[14:15], -v[10:11], v[12:13], 1.0
	s_delay_alu instid0(VALU_DEP_1) | instskip(NEXT) | instid1(VALU_DEP_1)
	v_fmac_f64_e32 v[12:13], v[12:13], v[14:15]
	v_mul_f64_e32 v[14:15], v[20:21], v[12:13]
	s_delay_alu instid0(VALU_DEP_1) | instskip(NEXT) | instid1(VALU_DEP_1)
	v_fma_f64 v[10:11], -v[10:11], v[14:15], v[20:21]
	v_div_fmas_f64 v[10:11], v[10:11], v[12:13], v[14:15]
	s_delay_alu instid0(VALU_DEP_1) | instskip(NEXT) | instid1(VALU_DEP_1)
	v_div_fixup_f64 v[6:7], v[10:11], v[8:9], v[6:7]
	v_fma_f64 v[6:7], v[6:7], v[6:7], 1.0
	s_delay_alu instid0(VALU_DEP_1) | instskip(SKIP_1) | instid1(VALU_DEP_1)
	v_cmp_gt_f64_e32 vcc_lo, 0x10000000, v[6:7]
	v_cndmask_b32_e64 v5, 0, 0x100, vcc_lo
	v_ldexp_f64 v[6:7], v[6:7], v5
	v_cndmask_b32_e64 v5, 0, 0xffffff80, vcc_lo
	s_delay_alu instid0(VALU_DEP_2) | instskip(SKIP_1) | instid1(TRANS32_DEP_1)
	v_rsq_f64_e32 v[10:11], v[6:7]
	v_cmp_class_f64_e64 vcc_lo, v[6:7], 0x260
	v_mul_f64_e32 v[12:13], v[6:7], v[10:11]
	v_mul_f64_e32 v[10:11], 0.5, v[10:11]
	s_delay_alu instid0(VALU_DEP_1) | instskip(NEXT) | instid1(VALU_DEP_1)
	v_fma_f64 v[14:15], -v[10:11], v[12:13], 0.5
	v_fmac_f64_e32 v[12:13], v[12:13], v[14:15]
	v_fmac_f64_e32 v[10:11], v[10:11], v[14:15]
	s_delay_alu instid0(VALU_DEP_2) | instskip(NEXT) | instid1(VALU_DEP_1)
	v_fma_f64 v[14:15], -v[12:13], v[12:13], v[6:7]
	v_fmac_f64_e32 v[12:13], v[14:15], v[10:11]
	s_delay_alu instid0(VALU_DEP_1) | instskip(NEXT) | instid1(VALU_DEP_1)
	v_fma_f64 v[14:15], -v[12:13], v[12:13], v[6:7]
	v_fmac_f64_e32 v[12:13], v[14:15], v[10:11]
	s_delay_alu instid0(VALU_DEP_1) | instskip(NEXT) | instid1(VALU_DEP_1)
	v_ldexp_f64 v[10:11], v[12:13], v5
	v_dual_cndmask_b32 v7, v11, v7 :: v_dual_cndmask_b32 v6, v10, v6
	s_delay_alu instid0(VALU_DEP_1)
	v_mul_f64_e32 v[10:11], v[8:9], v[6:7]
.LBB22_84:                              ;   in Loop: Header=BB22_78 Depth=1
	s_or_b32 exec_lo, exec_lo, s19
                                        ; implicit-def: $vgpr6_vgpr7
                                        ; implicit-def: $vgpr8_vgpr9
.LBB22_85:                              ;   in Loop: Header=BB22_78 Depth=1
	s_and_not1_saveexec_b32 s1, s1
	s_cbranch_execz .LBB22_87
; %bb.86:                               ;   in Loop: Header=BB22_78 Depth=1
	v_div_scale_f64 v[10:11], null, v[6:7], v[6:7], v[8:9]
	v_div_scale_f64 v[20:21], vcc_lo, v[8:9], v[6:7], v[8:9]
	s_delay_alu instid0(VALU_DEP_2) | instskip(SKIP_1) | instid1(TRANS32_DEP_1)
	v_rcp_f64_e32 v[12:13], v[10:11]
	v_nop
	v_fma_f64 v[14:15], -v[10:11], v[12:13], 1.0
	s_delay_alu instid0(VALU_DEP_1) | instskip(NEXT) | instid1(VALU_DEP_1)
	v_fmac_f64_e32 v[12:13], v[12:13], v[14:15]
	v_fma_f64 v[14:15], -v[10:11], v[12:13], 1.0
	s_delay_alu instid0(VALU_DEP_1) | instskip(NEXT) | instid1(VALU_DEP_1)
	v_fmac_f64_e32 v[12:13], v[12:13], v[14:15]
	v_mul_f64_e32 v[14:15], v[20:21], v[12:13]
	s_delay_alu instid0(VALU_DEP_1) | instskip(NEXT) | instid1(VALU_DEP_1)
	v_fma_f64 v[10:11], -v[10:11], v[14:15], v[20:21]
	v_div_fmas_f64 v[10:11], v[10:11], v[12:13], v[14:15]
	s_delay_alu instid0(VALU_DEP_1) | instskip(NEXT) | instid1(VALU_DEP_1)
	v_div_fixup_f64 v[8:9], v[10:11], v[6:7], v[8:9]
	v_fma_f64 v[8:9], v[8:9], v[8:9], 1.0
	s_delay_alu instid0(VALU_DEP_1) | instskip(SKIP_1) | instid1(VALU_DEP_1)
	v_cmp_gt_f64_e32 vcc_lo, 0x10000000, v[8:9]
	v_cndmask_b32_e64 v5, 0, 0x100, vcc_lo
	v_ldexp_f64 v[8:9], v[8:9], v5
	v_cndmask_b32_e64 v5, 0, 0xffffff80, vcc_lo
	s_delay_alu instid0(VALU_DEP_2) | instskip(SKIP_1) | instid1(TRANS32_DEP_1)
	v_rsq_f64_e32 v[10:11], v[8:9]
	v_cmp_class_f64_e64 vcc_lo, v[8:9], 0x260
	v_mul_f64_e32 v[12:13], v[8:9], v[10:11]
	v_mul_f64_e32 v[10:11], 0.5, v[10:11]
	s_delay_alu instid0(VALU_DEP_1) | instskip(NEXT) | instid1(VALU_DEP_1)
	v_fma_f64 v[14:15], -v[10:11], v[12:13], 0.5
	v_fmac_f64_e32 v[12:13], v[12:13], v[14:15]
	v_fmac_f64_e32 v[10:11], v[10:11], v[14:15]
	s_delay_alu instid0(VALU_DEP_2) | instskip(NEXT) | instid1(VALU_DEP_1)
	v_fma_f64 v[14:15], -v[12:13], v[12:13], v[8:9]
	v_fmac_f64_e32 v[12:13], v[14:15], v[10:11]
	s_delay_alu instid0(VALU_DEP_1) | instskip(NEXT) | instid1(VALU_DEP_1)
	v_fma_f64 v[14:15], -v[12:13], v[12:13], v[8:9]
	v_fmac_f64_e32 v[12:13], v[14:15], v[10:11]
	s_delay_alu instid0(VALU_DEP_1) | instskip(NEXT) | instid1(VALU_DEP_1)
	v_ldexp_f64 v[10:11], v[12:13], v5
	v_dual_cndmask_b32 v9, v11, v9 :: v_dual_cndmask_b32 v8, v10, v8
	s_delay_alu instid0(VALU_DEP_1)
	v_mul_f64_e32 v[10:11], v[6:7], v[8:9]
.LBB22_87:                              ;   in Loop: Header=BB22_78 Depth=1
	s_or_b32 exec_lo, exec_lo, s1
	s_delay_alu instid0(VALU_DEP_1)
	v_cmp_ge_f64_e32 vcc_lo, v[18:19], v[10:11]
	v_cndmask_b32_e32 v5, 16, v25, vcc_lo
	scratch_load_b128 v[6:9], v5, off
	s_wait_loadcnt 0x0
	scratch_store_b128 off, v[6:9], off offset:16
	s_wait_xcnt 0x0
	s_and_saveexec_b32 s1, s0
	s_cbranch_execz .LBB22_89
; %bb.88:                               ;   in Loop: Header=BB22_78 Depth=1
	scratch_load_b128 v[6:9], v5, off
	s_wait_xcnt 0x0
	v_ashrrev_i32_e32 v5, 31, v4
	s_delay_alu instid0(VALU_DEP_1)
	v_lshl_add_u64 v[4:5], v[4:5], 4, s[12:13]
	s_wait_loadcnt 0x0
	global_store_b128 v[4:5], v[6:9], off
.LBB22_89:                              ;   in Loop: Header=BB22_78 Depth=1
	s_wait_xcnt 0x0
	s_or_b32 exec_lo, exec_lo, s1
	s_mov_b32 s19, -1
	s_branch .LBB22_80
.LBB22_90:                              ;   in Loop: Header=BB22_78 Depth=1
	v_cmp_neq_f64_e32 vcc_lo, 0, v[0:1]
	v_cmp_neq_f64_e64 s1, 0, v[2:3]
	s_and_not1_b32 s19, s19, exec_lo
	s_mov_b32 s17, -1
	s_or_b32 s1, vcc_lo, s1
	s_delay_alu instid0(SALU_CYCLE_1) | instskip(NEXT) | instid1(SALU_CYCLE_1)
	s_and_b32 s1, s1, exec_lo
	s_or_b32 s19, s19, s1
                                        ; implicit-def: $vgpr32
	s_wait_xcnt 0x0
	s_and_saveexec_b32 s1, s19
	s_delay_alu instid0(SALU_CYCLE_1)
	s_xor_b32 s19, exec_lo, s1
	s_cbranch_execz .LBB22_112
.LBB22_91:                              ;   in Loop: Header=BB22_78 Depth=1
	v_add_nc_u32_e32 v32, 1, v30
	s_mov_b32 s23, exec_lo
	s_delay_alu instid0(VALU_DEP_1) | instskip(NEXT) | instid1(VALU_DEP_1)
	v_add_nc_u32_e32 v33, v32, v26
	v_cmpx_gt_i32_e64 s22, v33
	s_cbranch_execz .LBB22_111
; %bb.92:                               ;   in Loop: Header=BB22_78 Depth=1
	scratch_load_b128 v[0:3], off, off offset:16
	v_cmp_gt_i32_e64 s1, s22, v32
	s_mov_b32 s25, 0
	s_wait_loadcnt 0x0
	v_dual_mul_f64 v[4:5], v[2:3], v[2:3] :: v_dual_mov_b32 v34, v24
	s_delay_alu instid0(VALU_DEP_1) | instskip(NEXT) | instid1(VALU_DEP_1)
	v_fmac_f64_e32 v[4:5], v[0:1], v[0:1]
	v_div_scale_f64 v[6:7], null, v[4:5], v[4:5], 1.0
	s_delay_alu instid0(VALU_DEP_1) | instskip(SKIP_1) | instid1(TRANS32_DEP_1)
	v_rcp_f64_e32 v[8:9], v[6:7]
	v_nop
	v_fma_f64 v[10:11], -v[6:7], v[8:9], 1.0
	s_delay_alu instid0(VALU_DEP_1) | instskip(NEXT) | instid1(VALU_DEP_1)
	v_fmac_f64_e32 v[8:9], v[8:9], v[10:11]
	v_fma_f64 v[10:11], -v[6:7], v[8:9], 1.0
	s_delay_alu instid0(VALU_DEP_1) | instskip(SKIP_1) | instid1(VALU_DEP_1)
	v_fmac_f64_e32 v[8:9], v[8:9], v[10:11]
	v_div_scale_f64 v[10:11], vcc_lo, 1.0, v[4:5], 1.0
	v_mul_f64_e32 v[12:13], v[10:11], v[8:9]
	s_delay_alu instid0(VALU_DEP_1) | instskip(NEXT) | instid1(VALU_DEP_1)
	v_fma_f64 v[6:7], -v[6:7], v[12:13], v[10:11]
	v_div_fmas_f64 v[6:7], v[6:7], v[8:9], v[12:13]
	s_delay_alu instid0(VALU_DEP_1)
	v_div_fixup_f64 v[20:21], v[6:7], v[4:5], 1.0
	s_branch .LBB22_94
.LBB22_93:                              ;   in Loop: Header=BB22_94 Depth=2
	s_wait_xcnt 0x0
	s_or_b32 exec_lo, exec_lo, s26
	v_dual_add_nc_u32 v33, 32, v33 :: v_dual_add_nc_u32 v34, s11, v34
	s_delay_alu instid0(VALU_DEP_1) | instskip(SKIP_1) | instid1(SALU_CYCLE_1)
	v_cmp_le_i32_e32 vcc_lo, s22, v33
	s_or_b32 s25, vcc_lo, s25
	s_and_not1_b32 exec_lo, exec_lo, s25
	s_cbranch_execz .LBB22_111
.LBB22_94:                              ;   Parent Loop BB22_78 Depth=1
                                        ; =>  This Loop Header: Depth=2
                                        ;       Child Loop BB22_103 Depth 3
	v_add_nc_u32_e32 v8, v33, v31
	s_and_b32 vcc_lo, exec_lo, s9
	s_cbranch_vccz .LBB22_109
; %bb.95:                               ;   in Loop: Header=BB22_94 Depth=2
	v_add_nc_u32_e32 v4, v33, v31
	s_cbranch_execnz .LBB22_97
.LBB22_96:                              ;   in Loop: Header=BB22_94 Depth=2
	v_add_nc_u32_e32 v4, v33, v22
	s_delay_alu instid0(VALU_DEP_1)
	v_mad_u32 v4, v4, s22, v30
.LBB22_97:                              ;   in Loop: Header=BB22_94 Depth=2
	global_load_b128 v[4:7], v4, s[12:13] scale_offset
	s_and_b32 vcc_lo, exec_lo, s9
	s_cbranch_vccz .LBB22_110
; %bb.98:                               ;   in Loop: Header=BB22_94 Depth=2
	s_cbranch_execnz .LBB22_100
.LBB22_99:                              ;   in Loop: Header=BB22_94 Depth=2
	v_add_nc_u32_e32 v8, v33, v22
	s_delay_alu instid0(VALU_DEP_1)
	v_mad_u32 v8, v8, s22, v30
.LBB22_100:                             ;   in Loop: Header=BB22_94 Depth=2
	s_wait_loadcnt 0x0
	v_mul_f64_e32 v[10:11], v[2:3], v[6:7]
	v_mul_f64_e64 v[12:13], v[2:3], -v[4:5]
	s_delay_alu instid0(VALU_DEP_2) | instskip(NEXT) | instid1(VALU_DEP_2)
	v_fmac_f64_e32 v[10:11], v[4:5], v[0:1]
	v_fmac_f64_e32 v[12:13], v[6:7], v[0:1]
	s_wait_xcnt 0x0
	s_delay_alu instid0(VALU_DEP_2) | instskip(NEXT) | instid1(VALU_DEP_2)
	v_mul_f64_e32 v[4:5], v[20:21], v[10:11]
	v_mul_f64_e32 v[6:7], v[20:21], v[12:13]
	global_store_b128 v8, v[4:7], s[12:13] scale_offset
	s_wait_xcnt 0x0
	s_and_saveexec_b32 s26, s1
	s_cbranch_execz .LBB22_93
; %bb.101:                              ;   in Loop: Header=BB22_94 Depth=2
	v_dual_mov_b32 v35, v34 :: v_dual_mov_b32 v36, v23
	v_mov_b32_e32 v37, v32
	s_mov_b32 s27, s14
	s_branch .LBB22_103
.LBB22_102:                             ;   in Loop: Header=BB22_103 Depth=3
	s_wait_loadcnt 0x0
	v_dual_fma_f64 v[12:13], -v[4:5], v[8:9], v[12:13] :: v_dual_add_nc_u32 v35, 1, v35
	v_fma_f64 v[8:9], -v[6:7], v[8:9], v[14:15]
	v_add_nc_u32_e32 v36, 1, v36
	s_add_co_i32 s27, s27, -1
	v_add_nc_u32_e32 v37, 1, v37
	s_cmp_eq_u32 s27, 0
	s_delay_alu instid0(VALU_DEP_4) | instskip(NEXT) | instid1(VALU_DEP_4)
	v_fmac_f64_e32 v[12:13], v[6:7], v[10:11]
	v_fma_f64 v[14:15], -v[4:5], v[10:11], v[8:9]
	global_store_b128 v38, v[12:15], s[12:13] scale_offset
	s_cbranch_scc1 .LBB22_93
.LBB22_103:                             ;   Parent Loop BB22_78 Depth=1
                                        ;     Parent Loop BB22_94 Depth=2
                                        ; =>    This Inner Loop Header: Depth=3
	s_wait_xcnt 0x0
	s_delay_alu instid0(VALU_DEP_1)
	v_dual_add_nc_u32 v12, v37, v22 :: v_dual_mov_b32 v8, v36
	s_and_not1_b32 vcc_lo, exec_lo, s9
	s_cbranch_vccnz .LBB22_105
; %bb.104:                              ;   in Loop: Header=BB22_103 Depth=3
	s_delay_alu instid0(VALU_DEP_1)
	v_mad_u32 v8, v12, s22, v30
.LBB22_105:                             ;   in Loop: Header=BB22_103 Depth=3
	global_load_b128 v[8:11], v8, s[12:13] scale_offset
	v_mad_u32 v39, v12, s22, v33
	v_mov_b32_e32 v13, v35
	s_and_not1_b32 vcc_lo, exec_lo, s9
	s_cbranch_vccnz .LBB22_107
; %bb.106:                              ;   in Loop: Header=BB22_103 Depth=3
	v_mad_u32 v13, v12, s22, v33
.LBB22_107:                             ;   in Loop: Header=BB22_103 Depth=3
	global_load_b128 v[12:15], v13, s[12:13] scale_offset
	v_mov_b32_e32 v38, v35
	s_and_not1_b32 vcc_lo, exec_lo, s9
	s_cbranch_vccnz .LBB22_102
; %bb.108:                              ;   in Loop: Header=BB22_103 Depth=3
	v_mov_b32_e32 v38, v39
	s_branch .LBB22_102
.LBB22_109:                             ;   in Loop: Header=BB22_94 Depth=2
                                        ; implicit-def: $vgpr4
	s_branch .LBB22_96
.LBB22_110:                             ;   in Loop: Header=BB22_94 Depth=2
                                        ; implicit-def: $vgpr8
	s_branch .LBB22_99
.LBB22_111:                             ;   in Loop: Header=BB22_78 Depth=1
	s_or_b32 exec_lo, exec_lo, s23
	s_delay_alu instid0(SALU_CYCLE_1)
	s_and_not1_b32 s17, s17, exec_lo
.LBB22_112:                             ;   in Loop: Header=BB22_78 Depth=1
	s_or_b32 exec_lo, exec_lo, s19
	s_delay_alu instid0(SALU_CYCLE_1) | instskip(SKIP_1) | instid1(SALU_CYCLE_1)
	s_and_not1_b32 s1, s16, exec_lo
	s_and_b32 s16, s16, exec_lo
	s_or_b32 s16, s1, s16
	s_and_saveexec_b32 s1, s17
	s_cbranch_execz .LBB22_77
; %bb.113:                              ;   in Loop: Header=BB22_78 Depth=1
	v_add_nc_u32_e32 v32, 1, v30
	s_or_b32 s16, s16, exec_lo
	s_branch .LBB22_77
.LBB22_114:
	s_or_b32 exec_lo, exec_lo, s8
	s_delay_alu instid0(SALU_CYCLE_1) | instskip(SKIP_1) | instid1(SALU_CYCLE_1)
	s_and_not1_b32 s0, s2, exec_lo
	s_and_b32 s1, s15, exec_lo
	s_or_b32 s2, s0, s1
.LBB22_115:
	s_or_b32 exec_lo, exec_lo, s4
	v_add_nc_u32_e32 v12, 1, v29
	s_mov_b32 s1, exec_lo
	s_delay_alu instid0(VALU_DEP_1)
	v_cmpx_lt_i32_e64 v12, v27
	s_cbranch_execz .LBB22_139
; %bb.116:
	v_mul_lo_u32 v13, v29, s22
	s_mul_i32 s4, s22, s22
	v_cmp_gt_i32_e64 s0, s22, v26
	v_mul_lo_u32 v0, s4, v12
	s_cmp_lg_u32 s18, 0
	s_mov_b32 s8, 0
	s_cselect_b32 s9, -1, 0
	s_add_co_i32 s10, s22, 1
	s_add_co_i32 s11, s22, -1
	v_mad_u32 v14, s22, v13, s22
	s_delay_alu instid0(VALU_DEP_2)
	v_add3_u32 v15, v0, s22, v26
	s_branch .LBB22_118
.LBB22_117:                             ;   in Loop: Header=BB22_118 Depth=1
	s_delay_alu instid0(VALU_DEP_1) | instskip(NEXT) | instid1(VALU_DEP_1)
	v_dual_add_nc_u32 v12, 1, v12 :: v_dual_add_nc_u32 v15, s4, v15
	v_cmp_ge_i32_e32 vcc_lo, v12, v27
	s_or_b32 s8, vcc_lo, s8
	s_delay_alu instid0(SALU_CYCLE_1)
	s_and_not1_b32 exec_lo, exec_lo, s8
	s_cbranch_execz .LBB22_139
.LBB22_118:                             ; =>This Loop Header: Depth=1
                                        ;     Child Loop BB22_121 Depth 2
                                        ;       Child Loop BB22_124 Depth 3
                                        ;         Child Loop BB22_127 Depth 4
	s_and_not1_b32 vcc_lo, exec_lo, s3
	s_cbranch_vccnz .LBB22_117
; %bb.119:                              ;   in Loop: Header=BB22_118 Depth=1
	v_mul_lo_u32 v18, v12, s22
	s_delay_alu instid0(VALU_DEP_3)
	v_dual_mov_b32 v19, v15 :: v_dual_mov_b32 v20, v14
	s_mov_b32 s15, 0
	s_mov_b32 s14, s11
	s_branch .LBB22_121
.LBB22_120:                             ;   in Loop: Header=BB22_121 Depth=2
	s_or_b32 exec_lo, exec_lo, s17
	v_dual_add_nc_u32 v20, s10, v20 :: v_dual_add_nc_u32 v19, s22, v19
	s_add_co_i32 s14, s14, -1
	s_cmp_eq_u32 s16, s22
	s_mov_b32 s15, s16
	s_cbranch_scc1 .LBB22_117
.LBB22_121:                             ;   Parent Loop BB22_118 Depth=1
                                        ; =>  This Loop Header: Depth=2
                                        ;       Child Loop BB22_124 Depth 3
                                        ;         Child Loop BB22_127 Depth 4
	s_add_co_i32 s16, s15, 1
	s_and_saveexec_b32 s17, s0
	s_cbranch_execz .LBB22_120
; %bb.122:                              ;   in Loop: Header=BB22_121 Depth=2
	s_delay_alu instid0(VALU_DEP_2) | instskip(SKIP_2) | instid1(VALU_DEP_2)
	v_dual_add_nc_u32 v0, s15, v13 :: v_dual_add_nc_u32 v1, s15, v18
	v_dual_mov_b32 v23, v19 :: v_dual_mov_b32 v24, v26
	s_cmp_lt_i32 s16, s22
	v_mul_lo_u32 v21, v0, s22
	s_delay_alu instid0(VALU_DEP_3)
	v_mul_lo_u32 v22, v1, s22
	s_cselect_b32 s18, -1, 0
	s_mov_b32 s19, 0
	s_branch .LBB22_124
.LBB22_123:                             ;   in Loop: Header=BB22_124 Depth=3
	v_dual_add_nc_u32 v24, 32, v24 :: v_dual_add_nc_u32 v23, 32, v23
	s_delay_alu instid0(VALU_DEP_1)
	v_cmp_le_i32_e32 vcc_lo, s22, v24
	s_or_b32 s19, vcc_lo, s19
	s_wait_xcnt 0x0
	s_and_not1_b32 exec_lo, exec_lo, s19
	s_cbranch_execz .LBB22_120
.LBB22_124:                             ;   Parent Loop BB22_118 Depth=1
                                        ;     Parent Loop BB22_121 Depth=2
                                        ; =>    This Loop Header: Depth=3
                                        ;         Child Loop BB22_127 Depth 4
	s_and_not1_b32 vcc_lo, exec_lo, s18
	s_cbranch_vccnz .LBB22_123
; %bb.125:                              ;   in Loop: Header=BB22_124 Depth=3
	v_add_nc_u32_e32 v0, v24, v18
	s_delay_alu instid0(VALU_DEP_2) | instskip(SKIP_4) | instid1(VALU_DEP_1)
	v_add_nc_u32_e32 v29, v24, v22
	s_mov_b32 s23, 0
	s_mov_b32 s25, s14
	;; [unrolled: 1-line block ×3, first 2 shown]
	v_mul_lo_u32 v25, v0, s22
	v_add_nc_u32_e32 v28, s15, v25
	s_branch .LBB22_127
.LBB22_126:                             ;   in Loop: Header=BB22_127 Depth=4
	s_wait_loadcnt 0x0
	v_fma_f64 v[8:9], -v[0:1], v[4:5], v[8:9]
	v_fma_f64 v[4:5], -v[2:3], v[4:5], v[10:11]
	s_add_co_i32 s25, s25, -1
	s_add_co_i32 s26, s26, 1
	s_add_co_i32 s23, s23, s22
	s_cmp_eq_u32 s25, 0
	s_delay_alu instid0(VALU_DEP_2) | instskip(NEXT) | instid1(VALU_DEP_2)
	v_fmac_f64_e32 v[8:9], v[2:3], v[6:7]
	v_fma_f64 v[10:11], -v[0:1], v[6:7], v[4:5]
	global_store_b128 v30, v[8:11], s[12:13] scale_offset
	s_cbranch_scc1 .LBB22_123
.LBB22_127:                             ;   Parent Loop BB22_118 Depth=1
                                        ;     Parent Loop BB22_121 Depth=2
                                        ;       Parent Loop BB22_124 Depth=3
                                        ; =>      This Inner Loop Header: Depth=4
	s_and_b32 vcc_lo, exec_lo, s9
	s_cbranch_vccz .LBB22_135
; %bb.128:                              ;   in Loop: Header=BB22_127 Depth=4
	s_wait_xcnt 0x0
	v_add_nc_u32_e32 v8, s26, v21
	v_mov_b32_e32 v9, v28
	s_cbranch_execnz .LBB22_130
.LBB22_129:                             ;   in Loop: Header=BB22_127 Depth=4
	v_dual_mov_b32 v9, v29 :: v_dual_add_nc_u32 v8, s23, v20
.LBB22_130:                             ;   in Loop: Header=BB22_127 Depth=4
	s_clause 0x1
	global_load_b128 v[0:3], v8, s[12:13] scale_offset
	global_load_b128 v[4:7], v9, s[12:13] scale_offset
	v_add_nc_u32_e32 v30, s26, v25
	s_and_b32 vcc_lo, exec_lo, s9
	s_cbranch_vccz .LBB22_136
; %bb.131:                              ;   in Loop: Header=BB22_127 Depth=4
	s_wait_xcnt 0x1
	v_add_nc_u32_e32 v8, s26, v25
	v_add_nc_u32_e32 v31, s23, v23
	s_cbranch_execnz .LBB22_133
.LBB22_132:                             ;   in Loop: Header=BB22_127 Depth=4
	s_wait_xcnt 0x1
	v_add_nc_u32_e32 v8, s23, v23
.LBB22_133:                             ;   in Loop: Header=BB22_127 Depth=4
	global_load_b128 v[8:11], v8, s[12:13] scale_offset
	s_and_b32 vcc_lo, exec_lo, s9
	s_cbranch_vccz .LBB22_137
; %bb.134:                              ;   in Loop: Header=BB22_127 Depth=4
	s_cbranch_execnz .LBB22_126
	s_branch .LBB22_138
.LBB22_135:                             ;   in Loop: Header=BB22_127 Depth=4
                                        ; implicit-def: $vgpr8
	s_wait_xcnt 0x0
	v_mov_b32_e32 v9, v28
	s_branch .LBB22_129
.LBB22_136:                             ;   in Loop: Header=BB22_127 Depth=4
                                        ; implicit-def: $vgpr8
	v_add_nc_u32_e32 v31, s23, v23
	s_branch .LBB22_132
.LBB22_137:                             ;   in Loop: Header=BB22_127 Depth=4
                                        ; implicit-def: $vgpr30
.LBB22_138:                             ;   in Loop: Header=BB22_127 Depth=4
	v_mov_b32_e32 v30, v31
	s_branch .LBB22_126
.LBB22_139:
	s_or_b32 exec_lo, exec_lo, s1
	s_delay_alu instid0(SALU_CYCLE_1)
	s_or_not1_b32 s2, s2, exec_lo
.LBB22_140:
	s_or_b32 exec_lo, exec_lo, s5
	v_cmp_eq_u32_e32 vcc_lo, 0, v26
	s_and_b32 exec_lo, exec_lo, vcc_lo
	s_cbranch_execz .LBB22_146
; %bb.141:
	v_lshl_add_u64 v[0:1], v[16:17], 2, s[20:21]
	v_mov_b32_e32 v2, 1
	global_wb scope:SCOPE_DEV
	s_wait_storecnt 0x0
	global_store_b32 v[0:1], v2, off scope:SCOPE_DEV
	s_wait_xcnt 0x0
	s_and_b32 exec_lo, exec_lo, s2
	s_cbranch_execz .LBB22_146
; %bb.142:
	v_add_nc_u32_e32 v0, s24, v16
	s_mov_b32 s1, exec_lo
	s_brev_b32 s0, -2
.LBB22_143:                             ; =>This Inner Loop Header: Depth=1
	s_ctz_i32_b32 s2, s1
	s_delay_alu instid0(VALU_DEP_1) | instid1(SALU_CYCLE_1)
	v_readlane_b32 s3, v0, s2
	s_lshl_b32 s2, 1, s2
	s_delay_alu instid0(SALU_CYCLE_1)
	s_and_not1_b32 s1, s1, s2
	s_min_i32 s0, s0, s3
	s_cmp_lg_u32 s1, 0
	s_cbranch_scc1 .LBB22_143
; %bb.144:
	v_mbcnt_lo_u32_b32 v0, exec_lo, 0
	s_mov_b32 s1, exec_lo
	s_delay_alu instid0(VALU_DEP_1)
	v_cmpx_eq_u32_e32 0, v0
	s_xor_b32 s1, exec_lo, s1
	s_cbranch_execz .LBB22_146
; %bb.145:
	v_dual_mov_b32 v0, 0 :: v_dual_mov_b32 v1, s0
	global_atomic_min_i32 v0, v1, s[6:7] scope:SCOPE_DEV
.LBB22_146:
	s_endpgm
	.section	.rodata,"a",@progbits
	.p2align	6, 0x0
	.amdhsa_kernel _ZN9rocsparseL15bsrilu0_generalILj128ELj32ELb0E21rocsparse_complex_numIdEEEv20rocsparse_direction_iPKiS5_PT2_S5_iPiS5_S8_21rocsparse_index_base_imNS_24const_host_device_scalarIfEENSA_IdEENSA_IS6_EEb
		.amdhsa_group_segment_fixed_size 0
		.amdhsa_private_segment_fixed_size 48
		.amdhsa_kernarg_size 124
		.amdhsa_user_sgpr_count 2
		.amdhsa_user_sgpr_dispatch_ptr 0
		.amdhsa_user_sgpr_queue_ptr 0
		.amdhsa_user_sgpr_kernarg_segment_ptr 1
		.amdhsa_user_sgpr_dispatch_id 0
		.amdhsa_user_sgpr_kernarg_preload_length 0
		.amdhsa_user_sgpr_kernarg_preload_offset 0
		.amdhsa_user_sgpr_private_segment_size 0
		.amdhsa_wavefront_size32 1
		.amdhsa_uses_dynamic_stack 0
		.amdhsa_enable_private_segment 1
		.amdhsa_system_sgpr_workgroup_id_x 1
		.amdhsa_system_sgpr_workgroup_id_y 0
		.amdhsa_system_sgpr_workgroup_id_z 0
		.amdhsa_system_sgpr_workgroup_info 0
		.amdhsa_system_vgpr_workitem_id 0
		.amdhsa_next_free_vgpr 48
		.amdhsa_next_free_sgpr 44
		.amdhsa_named_barrier_count 0
		.amdhsa_reserve_vcc 1
		.amdhsa_float_round_mode_32 0
		.amdhsa_float_round_mode_16_64 0
		.amdhsa_float_denorm_mode_32 3
		.amdhsa_float_denorm_mode_16_64 3
		.amdhsa_fp16_overflow 0
		.amdhsa_memory_ordered 1
		.amdhsa_forward_progress 1
		.amdhsa_inst_pref_size 39
		.amdhsa_round_robin_scheduling 0
		.amdhsa_exception_fp_ieee_invalid_op 0
		.amdhsa_exception_fp_denorm_src 0
		.amdhsa_exception_fp_ieee_div_zero 0
		.amdhsa_exception_fp_ieee_overflow 0
		.amdhsa_exception_fp_ieee_underflow 0
		.amdhsa_exception_fp_ieee_inexact 0
		.amdhsa_exception_int_div_zero 0
	.end_amdhsa_kernel
	.section	.text._ZN9rocsparseL15bsrilu0_generalILj128ELj32ELb0E21rocsparse_complex_numIdEEEv20rocsparse_direction_iPKiS5_PT2_S5_iPiS5_S8_21rocsparse_index_base_imNS_24const_host_device_scalarIfEENSA_IdEENSA_IS6_EEb,"axG",@progbits,_ZN9rocsparseL15bsrilu0_generalILj128ELj32ELb0E21rocsparse_complex_numIdEEEv20rocsparse_direction_iPKiS5_PT2_S5_iPiS5_S8_21rocsparse_index_base_imNS_24const_host_device_scalarIfEENSA_IdEENSA_IS6_EEb,comdat
.Lfunc_end22:
	.size	_ZN9rocsparseL15bsrilu0_generalILj128ELj32ELb0E21rocsparse_complex_numIdEEEv20rocsparse_direction_iPKiS5_PT2_S5_iPiS5_S8_21rocsparse_index_base_imNS_24const_host_device_scalarIfEENSA_IdEENSA_IS6_EEb, .Lfunc_end22-_ZN9rocsparseL15bsrilu0_generalILj128ELj32ELb0E21rocsparse_complex_numIdEEEv20rocsparse_direction_iPKiS5_PT2_S5_iPiS5_S8_21rocsparse_index_base_imNS_24const_host_device_scalarIfEENSA_IdEENSA_IS6_EEb
                                        ; -- End function
	.set _ZN9rocsparseL15bsrilu0_generalILj128ELj32ELb0E21rocsparse_complex_numIdEEEv20rocsparse_direction_iPKiS5_PT2_S5_iPiS5_S8_21rocsparse_index_base_imNS_24const_host_device_scalarIfEENSA_IdEENSA_IS6_EEb.num_vgpr, 48
	.set _ZN9rocsparseL15bsrilu0_generalILj128ELj32ELb0E21rocsparse_complex_numIdEEEv20rocsparse_direction_iPKiS5_PT2_S5_iPiS5_S8_21rocsparse_index_base_imNS_24const_host_device_scalarIfEENSA_IdEENSA_IS6_EEb.num_agpr, 0
	.set _ZN9rocsparseL15bsrilu0_generalILj128ELj32ELb0E21rocsparse_complex_numIdEEEv20rocsparse_direction_iPKiS5_PT2_S5_iPiS5_S8_21rocsparse_index_base_imNS_24const_host_device_scalarIfEENSA_IdEENSA_IS6_EEb.numbered_sgpr, 44
	.set _ZN9rocsparseL15bsrilu0_generalILj128ELj32ELb0E21rocsparse_complex_numIdEEEv20rocsparse_direction_iPKiS5_PT2_S5_iPiS5_S8_21rocsparse_index_base_imNS_24const_host_device_scalarIfEENSA_IdEENSA_IS6_EEb.num_named_barrier, 0
	.set _ZN9rocsparseL15bsrilu0_generalILj128ELj32ELb0E21rocsparse_complex_numIdEEEv20rocsparse_direction_iPKiS5_PT2_S5_iPiS5_S8_21rocsparse_index_base_imNS_24const_host_device_scalarIfEENSA_IdEENSA_IS6_EEb.private_seg_size, 48
	.set _ZN9rocsparseL15bsrilu0_generalILj128ELj32ELb0E21rocsparse_complex_numIdEEEv20rocsparse_direction_iPKiS5_PT2_S5_iPiS5_S8_21rocsparse_index_base_imNS_24const_host_device_scalarIfEENSA_IdEENSA_IS6_EEb.uses_vcc, 1
	.set _ZN9rocsparseL15bsrilu0_generalILj128ELj32ELb0E21rocsparse_complex_numIdEEEv20rocsparse_direction_iPKiS5_PT2_S5_iPiS5_S8_21rocsparse_index_base_imNS_24const_host_device_scalarIfEENSA_IdEENSA_IS6_EEb.uses_flat_scratch, 0
	.set _ZN9rocsparseL15bsrilu0_generalILj128ELj32ELb0E21rocsparse_complex_numIdEEEv20rocsparse_direction_iPKiS5_PT2_S5_iPiS5_S8_21rocsparse_index_base_imNS_24const_host_device_scalarIfEENSA_IdEENSA_IS6_EEb.has_dyn_sized_stack, 0
	.set _ZN9rocsparseL15bsrilu0_generalILj128ELj32ELb0E21rocsparse_complex_numIdEEEv20rocsparse_direction_iPKiS5_PT2_S5_iPiS5_S8_21rocsparse_index_base_imNS_24const_host_device_scalarIfEENSA_IdEENSA_IS6_EEb.has_recursion, 0
	.set _ZN9rocsparseL15bsrilu0_generalILj128ELj32ELb0E21rocsparse_complex_numIdEEEv20rocsparse_direction_iPKiS5_PT2_S5_iPiS5_S8_21rocsparse_index_base_imNS_24const_host_device_scalarIfEENSA_IdEENSA_IS6_EEb.has_indirect_call, 0
	.section	.AMDGPU.csdata,"",@progbits
; Kernel info:
; codeLenInByte = 4916
; TotalNumSgprs: 46
; NumVgprs: 48
; ScratchSize: 48
; MemoryBound: 0
; FloatMode: 240
; IeeeMode: 1
; LDSByteSize: 0 bytes/workgroup (compile time only)
; SGPRBlocks: 0
; VGPRBlocks: 2
; NumSGPRsForWavesPerEU: 46
; NumVGPRsForWavesPerEU: 48
; NamedBarCnt: 0
; Occupancy: 16
; WaveLimiterHint : 1
; COMPUTE_PGM_RSRC2:SCRATCH_EN: 1
; COMPUTE_PGM_RSRC2:USER_SGPR: 2
; COMPUTE_PGM_RSRC2:TRAP_HANDLER: 0
; COMPUTE_PGM_RSRC2:TGID_X_EN: 1
; COMPUTE_PGM_RSRC2:TGID_Y_EN: 0
; COMPUTE_PGM_RSRC2:TGID_Z_EN: 0
; COMPUTE_PGM_RSRC2:TIDIG_COMP_CNT: 0
	.section	.text._ZN9rocsparseL11bsrilu0_2_8ILj64ELj64ELj8E21rocsparse_complex_numIdEEEv20rocsparse_direction_iPKiS5_PT2_S5_iPiS5_S8_21rocsparse_index_base_imNS_24const_host_device_scalarIfEENSA_IdEENSA_IS6_EEb,"axG",@progbits,_ZN9rocsparseL11bsrilu0_2_8ILj64ELj64ELj8E21rocsparse_complex_numIdEEEv20rocsparse_direction_iPKiS5_PT2_S5_iPiS5_S8_21rocsparse_index_base_imNS_24const_host_device_scalarIfEENSA_IdEENSA_IS6_EEb,comdat
	.globl	_ZN9rocsparseL11bsrilu0_2_8ILj64ELj64ELj8E21rocsparse_complex_numIdEEEv20rocsparse_direction_iPKiS5_PT2_S5_iPiS5_S8_21rocsparse_index_base_imNS_24const_host_device_scalarIfEENSA_IdEENSA_IS6_EEb ; -- Begin function _ZN9rocsparseL11bsrilu0_2_8ILj64ELj64ELj8E21rocsparse_complex_numIdEEEv20rocsparse_direction_iPKiS5_PT2_S5_iPiS5_S8_21rocsparse_index_base_imNS_24const_host_device_scalarIfEENSA_IdEENSA_IS6_EEb
	.p2align	8
	.type	_ZN9rocsparseL11bsrilu0_2_8ILj64ELj64ELj8E21rocsparse_complex_numIdEEEv20rocsparse_direction_iPKiS5_PT2_S5_iPiS5_S8_21rocsparse_index_base_imNS_24const_host_device_scalarIfEENSA_IdEENSA_IS6_EEb,@function
_ZN9rocsparseL11bsrilu0_2_8ILj64ELj64ELj8E21rocsparse_complex_numIdEEEv20rocsparse_direction_iPKiS5_PT2_S5_iPiS5_S8_21rocsparse_index_base_imNS_24const_host_device_scalarIfEENSA_IdEENSA_IS6_EEb: ; @_ZN9rocsparseL11bsrilu0_2_8ILj64ELj64ELj8E21rocsparse_complex_numIdEEEv20rocsparse_direction_iPKiS5_PT2_S5_iPiS5_S8_21rocsparse_index_base_imNS_24const_host_device_scalarIfEENSA_IdEENSA_IS6_EEb
; %bb.0:
	s_clause 0x2
	s_load_b96 s[4:6], s[0:1], 0x70
	s_load_b64 s[20:21], s[0:1], 0x48
	s_load_b256 s[12:19], s[0:1], 0x50
	s_wait_kmcnt 0x0
	s_bitcmp1_b32 s6, 0
	s_cselect_b32 s2, -1, 0
	s_cmp_eq_u32 s21, 0
	v_mov_b64_e32 v[2:3], s[18:19]
	s_cselect_b32 s6, -1, 0
	s_cmp_lg_u32 s21, 0
	s_cselect_b32 s3, -1, 0
	s_or_b32 s9, s6, s2
	s_delay_alu instid0(SALU_CYCLE_1)
	s_xor_b32 s8, s9, -1
	s_and_b32 s6, s6, exec_lo
	s_cselect_b32 s7, 0, s17
	s_cselect_b32 s6, 0, s16
	;; [unrolled: 1-line block ×3, first 2 shown]
	s_and_b32 vcc_lo, exec_lo, s9
	scratch_store_b64 off, v[2:3], off offset:32
	s_cbranch_vccnz .LBB23_2
; %bb.1:
	s_load_b32 s33, s[14:15], 0x0
	s_mov_b64 s[6:7], s[16:17]
.LBB23_2:
	s_delay_alu instid0(SALU_CYCLE_1)
	v_mov_b64_e32 v[6:7], s[6:7]
	s_and_not1_b32 vcc_lo, exec_lo, s8
	s_cbranch_vccnz .LBB23_4
; %bb.3:
	v_mov_b32_e32 v1, 0
	flat_load_b64 v[6:7], v1, s[16:17]
.LBB23_4:
	s_wait_xcnt 0x0
	v_mov_b64_e32 v[2:3], 0
	v_mov_b64_e32 v[4:5], 0
	v_cndmask_b32_e64 v17, 0, 1, s3
	s_and_not1_b32 vcc_lo, exec_lo, s3
	s_cbranch_vccnz .LBB23_7
; %bb.5:
	v_mbcnt_lo_u32_b32 v1, -1, 0
	v_mov_b32_e32 v2, 32
	v_mov_b64_e32 v[4:5], s[4:5]
	s_delay_alu instid0(VALU_DEP_3) | instskip(NEXT) | instid1(VALU_DEP_1)
	v_lshlrev_b32_e32 v3, 20, v1
	v_add_nc_u64_e32 v[2:3], src_flat_scratch_base_lo, v[2:3]
	s_delay_alu instid0(VALU_DEP_1) | instskip(NEXT) | instid1(VALU_DEP_2)
	v_cndmask_b32_e64 v3, s19, v3, s2
	v_cndmask_b32_e64 v2, s18, v2, s2
	s_xor_b32 s2, s2, -1
	s_delay_alu instid0(SALU_CYCLE_1)
	s_and_not1_b32 vcc_lo, exec_lo, s2
	flat_load_b64 v[2:3], v[2:3]
	s_cbranch_vccnz .LBB23_7
; %bb.6:
	v_mov_b32_e32 v1, 0
	flat_load_b64 v[4:5], v1, s[18:19] offset:8
.LBB23_7:
	s_wait_xcnt 0x0
	s_load_b128 s[16:19], s[0:1], 0x30
	s_bfe_u32 s2, ttmp6, 0x4000c
	s_and_b32 s3, ttmp6, 15
	s_add_co_i32 s2, s2, 1
	s_getreg_b32 s4, hwreg(HW_REG_IB_STS2, 6, 4)
	s_mul_i32 s2, ttmp9, s2
	s_mov_b32 s21, 0
	s_add_co_i32 s3, s3, s2
	s_cmp_eq_u32 s4, 0
	s_cselect_b32 s2, ttmp9, s3
	s_load_b64 s[14:15], s[0:1], 0x40
	s_wait_kmcnt 0x0
	s_load_b32 s22, s[18:19], s2 offset:0x0 scale_offset
	s_load_b256 s[4:11], s[0:1], 0x8
	s_wait_loadcnt_dscnt 0x0
	scratch_store_b128 off, v[2:5], off
	s_wait_kmcnt 0x0
	s_ashr_i32 s23, s22, 31
	s_delay_alu instid0(SALU_CYCLE_1) | instskip(NEXT) | instid1(SALU_CYCLE_1)
	s_lshl_b64 s[18:19], s[22:23], 2
	s_add_nc_u64 s[2:3], s[10:11], s[18:19]
	s_load_b32 s31, s[2:3], 0x0
	s_wait_kmcnt 0x0
	s_cmp_eq_u32 s31, -1
	s_cbranch_scc1 .LBB23_75
; %bb.8:
	s_add_nc_u64 s[2:3], s[4:5], s[18:19]
	v_bfe_u32 v1, v0, 10, 10
	s_load_b64 s[26:27], s[2:3], 0x0
	s_clause 0x1
	s_load_b64 s[24:25], s[0:1], 0x0
	s_load_b32 s23, s[0:1], 0x28
	v_and_b32_e32 v18, 0x3ff, v0
	v_mul_u32_u24_e32 v19, 0x90, v1
	v_add_nc_u32_e32 v16, 1, v1
	s_wait_kmcnt 0x0
	s_sub_co_i32 s34, s26, s20
	s_sub_co_i32 s30, s27, s20
	s_cmp_ge_i32 s34, s31
	s_cbranch_scc1 .LBB23_48
; %bb.9:
	v_dual_lshlrev_b32 v2, 4, v18 :: v_dual_add_nc_u32 v20, s34, v18
	v_max_u32_e32 v3, v18, v1
	s_cmp_eq_u32 s24, 0
	v_cmp_eq_u32_e64 s2, 0, v1
	s_delay_alu instid0(VALU_DEP_3)
	v_mad_u32_u24 v21, 0x90, v1, v2
	s_cselect_b32 vcc_lo, -1, 0
	v_cmp_gt_u32_e64 s3, s23, v3
	v_dual_cndmask_b32 v22, v1, v18, vcc_lo :: v_dual_cndmask_b32 v24, v18, v1, vcc_lo
	v_add_nc_u32_e32 v26, 1, v1
	v_add_nc_u32_e32 v23, 0x480, v21
	v_mad_u32_u24 v25, 0x90, v1, 0x90
	v_add_nc_u32_e32 v27, 0x510, v21
	v_dual_mov_b32 v29, 0 :: v_dual_add_nc_u32 v28, 0x480, v2
	s_cmp_gt_i32 s23, 0
	s_add_nc_u64 s[26:27], s[0:1], 0x80
	s_cselect_b32 s35, -1, 0
	s_add_co_i32 s25, s25, 1
	s_branch .LBB23_12
.LBB23_10:                              ;   in Loop: Header=BB23_12 Depth=1
	s_mov_b32 s21, -1
.LBB23_11:                              ;   in Loop: Header=BB23_12 Depth=1
	s_add_co_i32 s34, s34, 1
	s_delay_alu instid0(SALU_CYCLE_1) | instskip(SKIP_1) | instid1(SALU_CYCLE_1)
	s_cmp_lt_i32 s34, s31
	s_cselect_b32 s1, -1, 0
	s_and_b32 s0, s0, s1
	s_delay_alu instid0(SALU_CYCLE_1)
	s_and_b32 vcc_lo, exec_lo, s0
	s_cbranch_vccz .LBB23_48
.LBB23_12:                              ; =>This Loop Header: Depth=1
                                        ;     Child Loop BB23_16 Depth 2
                                        ;     Child Loop BB23_22 Depth 2
	;; [unrolled: 1-line block ×3, first 2 shown]
                                        ;       Child Loop BB23_37 Depth 3
                                        ;       Child Loop BB23_45 Depth 3
	v_mov_b32_e32 v2, s34
	v_mov_b64_e32 v[4:5], 0
	global_load_b32 v8, v2, s[6:7] scale_offset
	s_wait_xcnt 0x0
	v_mov_b64_e32 v[2:3], 0
	s_wait_loadcnt 0x0
	v_readfirstlane_b32 s0, v8
	s_and_saveexec_b32 s1, s3
	s_cbranch_execz .LBB23_14
; %bb.13:                               ;   in Loop: Header=BB23_12 Depth=1
	v_mad_u32 v2, s34, s23, v22
	s_delay_alu instid0(VALU_DEP_1)
	v_mad_u32 v2, v2, s23, v24
	global_load_b128 v[2:5], v2, s[8:9] scale_offset
.LBB23_14:                              ;   in Loop: Header=BB23_12 Depth=1
	s_wait_xcnt 0x0
	s_or_b32 exec_lo, exec_lo, s1
	s_sub_co_i32 s28, s0, s20
	s_wait_loadcnt 0x0
	ds_store_b128 v23, v[2:5]
	v_mov_b32_e32 v8, s28
	global_load_b32 v8, v8, s[10:11] scale_offset
	s_wait_loadcnt 0x0
	v_cmp_eq_u32_e32 vcc_lo, -1, v8
	v_readfirstlane_b32 s1, v8
	v_cmp_ne_u32_e64 s0, -1, v8
	s_cbranch_vccnz .LBB23_10
; %bb.15:                               ;   in Loop: Header=BB23_12 Depth=1
	s_ashr_i32 s29, s28, 31
	s_delay_alu instid0(SALU_CYCLE_1) | instskip(NEXT) | instid1(SALU_CYCLE_1)
	s_lshl_b64 s[28:29], s[28:29], 2
	s_add_nc_u64 s[36:37], s[4:5], s[28:29]
	s_add_nc_u64 s[28:29], s[16:17], s[28:29]
	global_load_b32 v2, v29, s[36:37] offset:4
	s_wait_loadcnt 0x0
	s_wait_xcnt 0x0
	v_readfirstlane_b32 s36, v2
.LBB23_16:                              ;   Parent Loop BB23_12 Depth=1
                                        ; =>  This Inner Loop Header: Depth=2
	global_load_b32 v2, v29, s[28:29] scope:SCOPE_DEV
	s_wait_loadcnt 0x0
	v_cmp_eq_u32_e32 vcc_lo, 0, v2
	s_cbranch_vccnz .LBB23_16
; %bb.17:                               ;   in Loop: Header=BB23_12 Depth=1
	v_mov_b64_e32 v[2:3], 0
	s_wait_storecnt_dscnt 0x0
	global_inv scope:SCOPE_DEV
	v_mov_b64_e32 v[4:5], v[2:3]
	s_wait_xcnt 0x0
	s_and_saveexec_b32 s28, s3
	s_cbranch_execz .LBB23_19
; %bb.18:                               ;   in Loop: Header=BB23_12 Depth=1
	v_mad_u32 v2, s1, s23, v22
	s_delay_alu instid0(VALU_DEP_1)
	v_mad_u32 v2, v2, s23, v24
	global_load_b128 v[2:5], v2, s[8:9] scale_offset
.LBB23_19:                              ;   in Loop: Header=BB23_12 Depth=1
	s_wait_xcnt 0x0
	s_or_b32 exec_lo, exec_lo, s28
	s_delay_alu instid0(SALU_CYCLE_1)
	s_and_not1_b32 vcc_lo, exec_lo, s35
	s_wait_loadcnt 0x0
	ds_store_b128 v21, v[2:5]
	s_wait_dscnt 0x0
	s_cbranch_vccnz .LBB23_26
; %bb.20:                               ;   in Loop: Header=BB23_12 Depth=1
	v_dual_mov_b32 v8, v28 :: v_dual_mov_b32 v9, v27
	v_dual_mov_b32 v10, v26 :: v_dual_mov_b32 v11, v25
	s_mov_b32 s28, 0
	s_mov_b32 s29, s23
	s_branch .LBB23_22
.LBB23_21:                              ;   in Loop: Header=BB23_22 Depth=2
	s_or_b32 exec_lo, exec_lo, s37
	v_add_nc_u32_e32 v11, 0xa0, v11
	v_add_nc_u32_e32 v10, 1, v10
	;; [unrolled: 1-line block ×4, first 2 shown]
	s_add_co_i32 s29, s29, -1
	s_addk_co_i32 s28, 0xa0
	s_cmp_eq_u32 s29, 0
	s_wait_dscnt 0x0
	s_cbranch_scc1 .LBB23_26
.LBB23_22:                              ;   Parent Loop BB23_12 Depth=1
                                        ; =>  This Inner Loop Header: Depth=2
	v_mov_b32_e32 v2, s28
	ds_load_b128 v[2:5], v2
	ds_load_b128 v[12:15], v8
	s_wait_dscnt 0x0
	v_mul_f64_e32 v[30:31], v[4:5], v[4:5]
	s_delay_alu instid0(VALU_DEP_1) | instskip(NEXT) | instid1(VALU_DEP_1)
	v_fmac_f64_e32 v[30:31], v[2:3], v[2:3]
	v_div_scale_f64 v[32:33], null, v[30:31], v[30:31], 1.0
	v_div_scale_f64 v[38:39], vcc_lo, 1.0, v[30:31], 1.0
	s_delay_alu instid0(VALU_DEP_2) | instskip(SKIP_1) | instid1(TRANS32_DEP_1)
	v_rcp_f64_e32 v[34:35], v[32:33]
	v_nop
	v_fma_f64 v[36:37], -v[32:33], v[34:35], 1.0
	s_delay_alu instid0(VALU_DEP_1) | instskip(NEXT) | instid1(VALU_DEP_1)
	v_fmac_f64_e32 v[34:35], v[34:35], v[36:37]
	v_fma_f64 v[36:37], -v[32:33], v[34:35], 1.0
	s_delay_alu instid0(VALU_DEP_1) | instskip(NEXT) | instid1(VALU_DEP_1)
	v_fmac_f64_e32 v[34:35], v[34:35], v[36:37]
	v_mul_f64_e32 v[36:37], v[38:39], v[34:35]
	s_delay_alu instid0(VALU_DEP_1) | instskip(SKIP_2) | instid1(VALU_DEP_3)
	v_fma_f64 v[32:33], -v[32:33], v[36:37], v[38:39]
	v_mul_f64_e32 v[38:39], v[4:5], v[14:15]
	v_mul_f64_e64 v[4:5], v[4:5], -v[12:13]
	v_div_fmas_f64 v[32:33], v[32:33], v[34:35], v[36:37]
	s_delay_alu instid0(VALU_DEP_3) | instskip(NEXT) | instid1(VALU_DEP_3)
	v_fmac_f64_e32 v[38:39], v[12:13], v[2:3]
	v_fmac_f64_e32 v[4:5], v[14:15], v[2:3]
	s_delay_alu instid0(VALU_DEP_3) | instskip(NEXT) | instid1(VALU_DEP_1)
	v_div_fixup_f64 v[12:13], v[32:33], v[30:31], 1.0
	v_mul_f64_e32 v[2:3], v[12:13], v[38:39]
	s_delay_alu instid0(VALU_DEP_3)
	v_mul_f64_e32 v[4:5], v[12:13], v[4:5]
	s_and_saveexec_b32 s37, s2
; %bb.23:                               ;   in Loop: Header=BB23_22 Depth=2
	ds_store_b128 v8, v[2:5]
; %bb.24:                               ;   in Loop: Header=BB23_22 Depth=2
	s_or_b32 exec_lo, exec_lo, s37
	s_delay_alu instid0(SALU_CYCLE_1)
	s_mov_b32 s37, exec_lo
	v_cmpx_gt_i32_e64 s23, v10
	s_cbranch_execz .LBB23_21
; %bb.25:                               ;   in Loop: Header=BB23_22 Depth=2
	ds_load_b128 v[12:15], v11
	ds_load_b128 v[30:33], v9
	s_wait_dscnt 0x0
	v_fma_f64 v[30:31], -v[2:3], v[12:13], v[30:31]
	v_fma_f64 v[12:13], -v[4:5], v[12:13], v[32:33]
	s_delay_alu instid0(VALU_DEP_2) | instskip(NEXT) | instid1(VALU_DEP_2)
	v_fmac_f64_e32 v[30:31], v[4:5], v[14:15]
	v_fma_f64 v[32:33], -v[2:3], v[14:15], v[12:13]
	ds_store_b128 v9, v[30:33]
	s_branch .LBB23_21
.LBB23_26:                              ;   in Loop: Header=BB23_12 Depth=1
	s_and_saveexec_b32 s28, s3
	s_cbranch_execz .LBB23_28
; %bb.27:                               ;   in Loop: Header=BB23_12 Depth=1
	v_mad_u32 v8, s34, s23, v22
	ds_load_2addr_b64 v[2:5], v23 offset1:1
	v_mad_u32 v8, v8, s23, v24
	s_wait_dscnt 0x0
	global_store_b128 v8, v[2:5], s[8:9] scale_offset
.LBB23_28:                              ;   in Loop: Header=BB23_12 Depth=1
	s_wait_xcnt 0x0
	s_or_b32 exec_lo, exec_lo, s28
	s_sub_co_i32 s28, s36, s20
	s_add_co_i32 s29, s1, 1
	s_delay_alu instid0(SALU_CYCLE_1)
	s_cmp_ge_i32 s29, s28
	s_cbranch_scc1 .LBB23_11
; %bb.29:                               ;   in Loop: Header=BB23_12 Depth=1
	s_load_b32 s1, s[26:27], 0xc
	s_wait_kmcnt 0x0
	s_and_b32 s1, s1, 0xffff
	s_delay_alu instid0(SALU_CYCLE_1) | instskip(NEXT) | instid1(VALU_DEP_1)
	v_mad_u32_u24 v8, v1, s1, v20
	v_ashrrev_i32_e32 v9, 31, v8
	v_cmp_gt_i32_e64 s1, s30, v8
	s_delay_alu instid0(VALU_DEP_2)
	v_lshl_add_u64 v[10:11], v[8:9], 2, s[6:7]
	s_branch .LBB23_32
.LBB23_30:                              ;   in Loop: Header=BB23_32 Depth=2
	s_wait_xcnt 0x0
	s_or_b32 exec_lo, exec_lo, s36
.LBB23_31:                              ;   in Loop: Header=BB23_32 Depth=2
	s_add_co_i32 s29, s29, 1
	s_wait_storecnt 0x0
	s_cmp_lt_i32 s29, s28
	s_cbranch_scc0 .LBB23_11
.LBB23_32:                              ;   Parent Loop BB23_12 Depth=1
                                        ; =>  This Loop Header: Depth=2
                                        ;       Child Loop BB23_37 Depth 3
                                        ;       Child Loop BB23_45 Depth 3
	v_dual_mov_b32 v2, s29 :: v_dual_mov_b32 v3, s25
	global_load_b32 v2, v2, s[6:7] scale_offset
	s_wait_xcnt 0x0
	s_and_saveexec_b32 s36, s1
	s_cbranch_execz .LBB23_34
; %bb.33:                               ;   in Loop: Header=BB23_32 Depth=2
	global_load_b32 v3, v[10:11], off
	s_wait_loadcnt 0x0
	v_subrev_nc_u32_e32 v3, s20, v3
.LBB23_34:                              ;   in Loop: Header=BB23_32 Depth=2
	s_wait_xcnt 0x0
	s_or_b32 exec_lo, exec_lo, s36
	s_wait_loadcnt 0x0
	v_subrev_nc_u32_e32 v2, s20, v2
	v_mov_b32_e32 v4, v8
	s_mov_b32 s36, exec_lo
	s_delay_alu instid0(VALU_DEP_2)
	v_cmpx_lt_i32_e64 v3, v2
	s_cbranch_execz .LBB23_40
; %bb.35:                               ;   in Loop: Header=BB23_32 Depth=2
	v_mov_b32_e32 v5, v8
	s_mov_b32 s37, 0
	s_branch .LBB23_37
.LBB23_36:                              ;   in Loop: Header=BB23_37 Depth=3
	s_wait_xcnt 0x0
	s_or_b32 exec_lo, exec_lo, s38
	s_delay_alu instid0(VALU_DEP_1) | instskip(SKIP_2) | instid1(SALU_CYCLE_1)
	v_cmp_ge_i32_e32 vcc_lo, v3, v2
	v_mov_b32_e32 v5, v4
	s_or_b32 s37, vcc_lo, s37
	s_and_not1_b32 exec_lo, exec_lo, s37
	s_cbranch_execz .LBB23_39
.LBB23_37:                              ;   Parent Loop BB23_12 Depth=1
                                        ;     Parent Loop BB23_32 Depth=2
                                        ; =>    This Inner Loop Header: Depth=3
	s_delay_alu instid0(VALU_DEP_1) | instskip(SKIP_1) | instid1(VALU_DEP_1)
	v_dual_mov_b32 v3, s25 :: v_dual_add_nc_u32 v4, 64, v5
	s_mov_b32 s38, exec_lo
	v_cmpx_gt_i32_e64 s30, v4
	s_cbranch_execz .LBB23_36
; %bb.38:                               ;   in Loop: Header=BB23_37 Depth=3
	global_load_b32 v3, v5, s[6:7] offset:256 scale_offset
	s_wait_loadcnt 0x0
	v_subrev_nc_u32_e32 v3, s20, v3
	s_branch .LBB23_36
.LBB23_39:                              ;   in Loop: Header=BB23_32 Depth=2
	s_or_b32 exec_lo, exec_lo, s37
.LBB23_40:                              ;   in Loop: Header=BB23_32 Depth=2
	s_delay_alu instid0(SALU_CYCLE_1)
	s_or_b32 exec_lo, exec_lo, s36
	v_cmp_eq_u32_e32 vcc_lo, v3, v2
	s_cbranch_vccz .LBB23_31
; %bb.41:                               ;   in Loop: Header=BB23_32 Depth=2
	s_ctz_i32_b32 s36, vcc_lo
	v_mov_b64_e32 v[12:13], 0
	s_lshl_b32 s36, s36, 2
	s_delay_alu instid0(SALU_CYCLE_1)
	v_mov_b32_e32 v2, s36
	ds_bpermute_b32 v9, v2, v4
	v_mov_b64_e32 v[4:5], 0
	v_mov_b64_e32 v[2:3], 0
	s_and_saveexec_b32 s36, s3
	s_cbranch_execz .LBB23_43
; %bb.42:                               ;   in Loop: Header=BB23_32 Depth=2
	v_mad_u32 v2, s29, s23, v22
	s_delay_alu instid0(VALU_DEP_1)
	v_mad_u32 v2, v2, s23, v24
	global_load_b128 v[2:5], v2, s[8:9] scale_offset
.LBB23_43:                              ;   in Loop: Header=BB23_32 Depth=2
	s_wait_xcnt 0x0
	s_or_b32 exec_lo, exec_lo, s36
	v_mov_b64_e32 v[14:15], 0
	s_and_not1_b32 vcc_lo, exec_lo, s35
	s_wait_loadcnt 0x0
	ds_store_b128 v21, v[2:5]
	s_wait_storecnt_dscnt 0x0
	s_cbranch_vccnz .LBB23_46
; %bb.44:                               ;   in Loop: Header=BB23_32 Depth=2
	v_mov_b64_e32 v[12:13], 0
	v_mov_b64_e32 v[14:15], 0
	v_dual_mov_b32 v2, v28 :: v_dual_mov_b32 v3, v19
	s_mov_b32 s36, s23
.LBB23_45:                              ;   Parent Loop BB23_12 Depth=1
                                        ;     Parent Loop BB23_32 Depth=2
                                        ; =>    This Inner Loop Header: Depth=3
	ds_load_b128 v[30:33], v2
	ds_load_b128 v[34:37], v3
	v_add_nc_u32_e32 v2, 0x90, v2
	s_add_co_i32 s36, s36, -1
	v_add_nc_u32_e32 v3, 16, v3
	s_cmp_eq_u32 s36, 0
	s_wait_dscnt 0x0
	v_fmac_f64_e32 v[12:13], v[30:31], v[34:35]
	v_fmac_f64_e32 v[14:15], v[32:33], v[34:35]
	s_delay_alu instid0(VALU_DEP_2) | instskip(NEXT) | instid1(VALU_DEP_2)
	v_fma_f64 v[12:13], -v[32:33], v[36:37], v[12:13]
	v_fmac_f64_e32 v[14:15], v[30:31], v[36:37]
	s_cbranch_scc0 .LBB23_45
.LBB23_46:                              ;   in Loop: Header=BB23_32 Depth=2
	s_and_saveexec_b32 s36, s3
	s_cbranch_execz .LBB23_30
; %bb.47:                               ;   in Loop: Header=BB23_32 Depth=2
	v_mad_u32 v2, v9, s23, v22
	s_delay_alu instid0(VALU_DEP_1)
	v_mad_u32 v9, v2, s23, v24
	global_load_b128 v[2:5], v9, s[8:9] scale_offset
	s_wait_loadcnt 0x0
	v_add_f64_e64 v[2:3], v[2:3], -v[12:13]
	v_add_f64_e64 v[4:5], v[4:5], -v[14:15]
	global_store_b128 v9, v[2:5], s[8:9] scale_offset
	s_branch .LBB23_30
.LBB23_48:
	v_mov_b32_e32 v2, s31
	global_load_b32 v2, v2, s[6:7] scale_offset
	s_wait_loadcnt 0x0
	v_subrev_nc_u32_e32 v2, s20, v2
	s_delay_alu instid0(VALU_DEP_1)
	v_cmp_ne_u32_e32 vcc_lo, s22, v2
	s_cbranch_vccnz .LBB23_79
; %bb.49:
	v_mov_b64_e32 v[4:5], 0
	v_max_u32_e32 v2, v18, v1
	s_delay_alu instid0(VALU_DEP_1) | instskip(NEXT) | instid1(VALU_DEP_3)
	v_cmp_gt_u32_e64 s0, s23, v2
	v_mov_b64_e32 v[2:3], v[4:5]
	s_and_saveexec_b32 s1, s0
	s_cbranch_execz .LBB23_51
; %bb.50:
	s_cmp_eq_u32 s24, 0
	s_cselect_b32 vcc_lo, -1, 0
	v_dual_cndmask_b32 v2, v1, v18 :: v_dual_cndmask_b32 v3, v18, v1
	s_delay_alu instid0(VALU_DEP_1) | instskip(NEXT) | instid1(VALU_DEP_1)
	v_mad_u32 v2, s31, s23, v2
	v_mad_u32 v2, v2, s23, v3
	global_load_b128 v[2:5], v2, s[8:9] scale_offset
.LBB23_51:
	s_wait_xcnt 0x0
	s_or_b32 exec_lo, exec_lo, s1
	v_lshlrev_b32_e32 v8, 4, v18
	s_cmp_lt_i32 s23, 1
	s_delay_alu instid0(VALU_DEP_1)
	v_mad_u32_u24 v14, 0x90, v1, v8
	s_wait_loadcnt 0x0
	ds_store_b128 v14, v[2:5]
	s_wait_storecnt_dscnt 0x0
	s_cbranch_scc1 .LBB23_76
; %bb.52:
	v_cvt_f64_f32_e32 v[2:3], s33
	v_dual_add_nc_u32 v21, 1, v18 :: v_dual_bitop2_b32 v4, v18, v1 bitop3:0x54
	s_cmp_eq_u64 s[12:13], 8
	v_cmp_eq_u32_e64 s1, 0, v1
	s_cselect_b32 vcc_lo, -1, 0
	v_add3_u32 v15, v19, v8, 0xa0
	v_mad_u32_u24 v20, 0x90, v1, 0x90
	v_dual_mov_b32 v25, 0 :: v_dual_add_nc_u32 v22, 16, v8
	v_mov_b32_e32 v23, 0
	v_cmp_eq_u32_e64 s2, 0, v4
	s_mov_b32 s4, 0
	s_mov_b32 s5, s23
	v_dual_mov_b32 v24, v16 :: v_dual_cndmask_b32 v6, v2, v6, vcc_lo
	v_cndmask_b32_e32 v7, v3, v7, vcc_lo
	s_branch .LBB23_54
.LBB23_53:                              ;   in Loop: Header=BB23_54 Depth=1
	s_or_b32 exec_lo, exec_lo, s6
	v_add_nc_u32_e32 v15, 0xa0, v15
	v_dual_mov_b32 v25, v2 :: v_dual_add_nc_u32 v20, 0xa0, v20
	v_dual_add_nc_u32 v24, 1, v24 :: v_dual_add_nc_u32 v21, 1, v21
	v_add_nc_u32_e32 v22, 0xa0, v22
	s_add_co_i32 s5, s5, -1
	s_addk_co_i32 s4, 0xa0
	s_cmp_eq_u32 s5, 0
	s_cbranch_scc1 .LBB23_76
.LBB23_54:                              ; =>This Inner Loop Header: Depth=1
	v_mov_b32_e32 v2, s4
	v_cmp_ne_u32_e32 vcc_lo, 1, v17
	s_mov_b32 s6, 0
	s_mov_b32 s3, -1
	ds_load_2addr_b64 v[2:5], v2 offset1:1
	s_wait_dscnt 0x0
	scratch_store_b128 off, v[2:5], off offset:16
	s_cbranch_vccz .LBB23_57
; %bb.55:                               ;   in Loop: Header=BB23_54 Depth=1
	s_and_b32 vcc_lo, exec_lo, s3
	s_mov_b32 s3, 0
	s_cbranch_vccnz .LBB23_66
.LBB23_56:                              ;   in Loop: Header=BB23_54 Depth=1
                                        ; implicit-def: $vgpr2
	s_wait_xcnt 0x0
	s_and_saveexec_b32 s7, s6
	s_delay_alu instid0(SALU_CYCLE_1)
	s_xor_b32 s6, exec_lo, s7
	s_cbranch_execnz .LBB23_67
	s_branch .LBB23_73
.LBB23_57:                              ;   in Loop: Header=BB23_54 Depth=1
	v_cmp_gt_f64_e32 vcc_lo, 0, v[2:3]
	v_xor_b32_e32 v9, 0x80000000, v3
	v_mov_b32_e32 v8, v2
	v_xor_b32_e32 v10, 0x80000000, v5
	s_mov_b32 s3, exec_lo
                                        ; implicit-def: $vgpr12_vgpr13
	s_delay_alu instid0(VALU_DEP_3) | instskip(SKIP_1) | instid1(VALU_DEP_3)
	v_cndmask_b32_e32 v9, v3, v9, vcc_lo
	v_cmp_gt_f64_e32 vcc_lo, 0, v[4:5]
	v_dual_cndmask_b32 v11, v5, v10 :: v_dual_mov_b32 v10, v4
	s_wait_xcnt 0x0
	s_delay_alu instid0(VALU_DEP_1)
	v_cmpx_ngt_f64_e32 v[8:9], v[10:11]
	s_xor_b32 s3, exec_lo, s3
	s_cbranch_execz .LBB23_61
; %bb.58:                               ;   in Loop: Header=BB23_54 Depth=1
	v_mov_b64_e32 v[12:13], 0
	s_mov_b32 s6, exec_lo
	v_cmpx_neq_f64_e32 0, v[4:5]
	s_cbranch_execz .LBB23_60
; %bb.59:                               ;   in Loop: Header=BB23_54 Depth=1
	v_div_scale_f64 v[12:13], null, v[10:11], v[10:11], v[8:9]
	v_div_scale_f64 v[30:31], vcc_lo, v[8:9], v[10:11], v[8:9]
	s_delay_alu instid0(VALU_DEP_2) | instskip(SKIP_1) | instid1(TRANS32_DEP_1)
	v_rcp_f64_e32 v[26:27], v[12:13]
	v_nop
	v_fma_f64 v[28:29], -v[12:13], v[26:27], 1.0
	s_delay_alu instid0(VALU_DEP_1) | instskip(NEXT) | instid1(VALU_DEP_1)
	v_fmac_f64_e32 v[26:27], v[26:27], v[28:29]
	v_fma_f64 v[28:29], -v[12:13], v[26:27], 1.0
	s_delay_alu instid0(VALU_DEP_1) | instskip(NEXT) | instid1(VALU_DEP_1)
	v_fmac_f64_e32 v[26:27], v[26:27], v[28:29]
	v_mul_f64_e32 v[28:29], v[30:31], v[26:27]
	s_delay_alu instid0(VALU_DEP_1) | instskip(NEXT) | instid1(VALU_DEP_1)
	v_fma_f64 v[12:13], -v[12:13], v[28:29], v[30:31]
	v_div_fmas_f64 v[12:13], v[12:13], v[26:27], v[28:29]
	s_delay_alu instid0(VALU_DEP_1) | instskip(NEXT) | instid1(VALU_DEP_1)
	v_div_fixup_f64 v[8:9], v[12:13], v[10:11], v[8:9]
	v_fma_f64 v[8:9], v[8:9], v[8:9], 1.0
	s_delay_alu instid0(VALU_DEP_1) | instskip(SKIP_1) | instid1(VALU_DEP_1)
	v_cmp_gt_f64_e32 vcc_lo, 0x10000000, v[8:9]
	v_cndmask_b32_e64 v12, 0, 0x100, vcc_lo
	v_ldexp_f64 v[8:9], v[8:9], v12
	s_delay_alu instid0(VALU_DEP_1) | instskip(SKIP_1) | instid1(TRANS32_DEP_1)
	v_rsq_f64_e32 v[12:13], v[8:9]
	v_nop
	v_mul_f64_e32 v[26:27], v[8:9], v[12:13]
	v_mul_f64_e32 v[12:13], 0.5, v[12:13]
	s_delay_alu instid0(VALU_DEP_1) | instskip(NEXT) | instid1(VALU_DEP_1)
	v_fma_f64 v[28:29], -v[12:13], v[26:27], 0.5
	v_fmac_f64_e32 v[26:27], v[26:27], v[28:29]
	v_fmac_f64_e32 v[12:13], v[12:13], v[28:29]
	s_delay_alu instid0(VALU_DEP_2) | instskip(NEXT) | instid1(VALU_DEP_1)
	v_fma_f64 v[28:29], -v[26:27], v[26:27], v[8:9]
	v_fmac_f64_e32 v[26:27], v[28:29], v[12:13]
	s_delay_alu instid0(VALU_DEP_1) | instskip(NEXT) | instid1(VALU_DEP_1)
	v_fma_f64 v[28:29], -v[26:27], v[26:27], v[8:9]
	v_fmac_f64_e32 v[26:27], v[28:29], v[12:13]
	v_cndmask_b32_e64 v12, 0, 0xffffff80, vcc_lo
	v_cmp_class_f64_e64 vcc_lo, v[8:9], 0x260
	s_delay_alu instid0(VALU_DEP_2) | instskip(NEXT) | instid1(VALU_DEP_1)
	v_ldexp_f64 v[12:13], v[26:27], v12
	v_dual_cndmask_b32 v9, v13, v9 :: v_dual_cndmask_b32 v8, v12, v8
	s_delay_alu instid0(VALU_DEP_1)
	v_mul_f64_e32 v[12:13], v[10:11], v[8:9]
.LBB23_60:                              ;   in Loop: Header=BB23_54 Depth=1
	s_or_b32 exec_lo, exec_lo, s6
                                        ; implicit-def: $vgpr8_vgpr9
                                        ; implicit-def: $vgpr10_vgpr11
.LBB23_61:                              ;   in Loop: Header=BB23_54 Depth=1
	s_and_not1_saveexec_b32 s3, s3
	s_cbranch_execz .LBB23_63
; %bb.62:                               ;   in Loop: Header=BB23_54 Depth=1
	v_div_scale_f64 v[12:13], null, v[8:9], v[8:9], v[10:11]
	v_div_scale_f64 v[30:31], vcc_lo, v[10:11], v[8:9], v[10:11]
	s_delay_alu instid0(VALU_DEP_2) | instskip(SKIP_1) | instid1(TRANS32_DEP_1)
	v_rcp_f64_e32 v[26:27], v[12:13]
	v_nop
	v_fma_f64 v[28:29], -v[12:13], v[26:27], 1.0
	s_delay_alu instid0(VALU_DEP_1) | instskip(NEXT) | instid1(VALU_DEP_1)
	v_fmac_f64_e32 v[26:27], v[26:27], v[28:29]
	v_fma_f64 v[28:29], -v[12:13], v[26:27], 1.0
	s_delay_alu instid0(VALU_DEP_1) | instskip(NEXT) | instid1(VALU_DEP_1)
	v_fmac_f64_e32 v[26:27], v[26:27], v[28:29]
	v_mul_f64_e32 v[28:29], v[30:31], v[26:27]
	s_delay_alu instid0(VALU_DEP_1) | instskip(NEXT) | instid1(VALU_DEP_1)
	v_fma_f64 v[12:13], -v[12:13], v[28:29], v[30:31]
	v_div_fmas_f64 v[12:13], v[12:13], v[26:27], v[28:29]
	s_delay_alu instid0(VALU_DEP_1) | instskip(NEXT) | instid1(VALU_DEP_1)
	v_div_fixup_f64 v[10:11], v[12:13], v[8:9], v[10:11]
	v_fma_f64 v[10:11], v[10:11], v[10:11], 1.0
	s_delay_alu instid0(VALU_DEP_1) | instskip(SKIP_1) | instid1(VALU_DEP_1)
	v_cmp_gt_f64_e32 vcc_lo, 0x10000000, v[10:11]
	v_cndmask_b32_e64 v12, 0, 0x100, vcc_lo
	v_ldexp_f64 v[10:11], v[10:11], v12
	s_delay_alu instid0(VALU_DEP_1) | instskip(SKIP_1) | instid1(TRANS32_DEP_1)
	v_rsq_f64_e32 v[12:13], v[10:11]
	v_nop
	v_mul_f64_e32 v[26:27], v[10:11], v[12:13]
	v_mul_f64_e32 v[12:13], 0.5, v[12:13]
	s_delay_alu instid0(VALU_DEP_1) | instskip(NEXT) | instid1(VALU_DEP_1)
	v_fma_f64 v[28:29], -v[12:13], v[26:27], 0.5
	v_fmac_f64_e32 v[26:27], v[26:27], v[28:29]
	v_fmac_f64_e32 v[12:13], v[12:13], v[28:29]
	s_delay_alu instid0(VALU_DEP_2) | instskip(NEXT) | instid1(VALU_DEP_1)
	v_fma_f64 v[28:29], -v[26:27], v[26:27], v[10:11]
	v_fmac_f64_e32 v[26:27], v[28:29], v[12:13]
	s_delay_alu instid0(VALU_DEP_1) | instskip(NEXT) | instid1(VALU_DEP_1)
	v_fma_f64 v[28:29], -v[26:27], v[26:27], v[10:11]
	v_fmac_f64_e32 v[26:27], v[28:29], v[12:13]
	v_cndmask_b32_e64 v12, 0, 0xffffff80, vcc_lo
	v_cmp_class_f64_e64 vcc_lo, v[10:11], 0x260
	s_delay_alu instid0(VALU_DEP_2) | instskip(NEXT) | instid1(VALU_DEP_1)
	v_ldexp_f64 v[12:13], v[26:27], v12
	v_dual_cndmask_b32 v11, v13, v11 :: v_dual_cndmask_b32 v10, v12, v10
	s_delay_alu instid0(VALU_DEP_1)
	v_mul_f64_e32 v[12:13], v[8:9], v[10:11]
.LBB23_63:                              ;   in Loop: Header=BB23_54 Depth=1
	s_or_b32 exec_lo, exec_lo, s3
	s_delay_alu instid0(VALU_DEP_1)
	v_cmp_ge_f64_e32 vcc_lo, v[6:7], v[12:13]
	v_cndmask_b32_e32 v8, 16, v23, vcc_lo
	scratch_load_b128 v[8:11], v8, off
	s_wait_loadcnt 0x0
	scratch_store_b128 off, v[8:11], off offset:16
	s_wait_storecnt 0x0
	s_wait_xcnt 0x0
	s_and_saveexec_b32 s3, s2
	s_cbranch_execz .LBB23_65
; %bb.64:                               ;   in Loop: Header=BB23_54 Depth=1
	scratch_load_b128 v[8:11], off, off offset:16
	v_mov_b32_e32 v12, s4
	s_wait_loadcnt 0x0
	ds_store_2addr_b64 v12, v[8:9], v[10:11] offset1:1
.LBB23_65:                              ;   in Loop: Header=BB23_54 Depth=1
	s_or_b32 exec_lo, exec_lo, s3
	s_mov_b32 s6, -1
	s_mov_b32 s3, 0
	s_branch .LBB23_56
.LBB23_66:                              ;   in Loop: Header=BB23_54 Depth=1
	v_cmp_neq_f64_e32 vcc_lo, 0, v[2:3]
	v_cmp_neq_f64_e64 s3, 0, v[4:5]
	s_and_not1_b32 s6, s6, exec_lo
	s_or_b32 s3, vcc_lo, s3
	s_delay_alu instid0(SALU_CYCLE_1) | instskip(SKIP_4) | instid1(SALU_CYCLE_1)
	s_and_b32 s7, s3, exec_lo
	s_mov_b32 s3, -1
	s_or_b32 s6, s6, s7
                                        ; implicit-def: $vgpr2
	s_wait_xcnt 0x0
	s_and_saveexec_b32 s7, s6
	s_xor_b32 s6, exec_lo, s7
	s_cbranch_execz .LBB23_73
.LBB23_67:                              ;   in Loop: Header=BB23_54 Depth=1
	s_mov_b32 s7, exec_lo
	v_cmpx_gt_i32_e64 s23, v21
	s_cbranch_execz .LBB23_72
; %bb.68:                               ;   in Loop: Header=BB23_54 Depth=1
	scratch_load_b128 v[2:5], off, off offset:16
	s_wait_loadcnt 0x0
	v_mul_f64_e32 v[12:13], v[4:5], v[4:5]
	s_delay_alu instid0(VALU_DEP_1) | instskip(NEXT) | instid1(VALU_DEP_1)
	v_fmac_f64_e32 v[12:13], v[2:3], v[2:3]
	v_div_scale_f64 v[8:9], null, v[12:13], v[12:13], 1.0
	v_div_scale_f64 v[28:29], vcc_lo, 1.0, v[12:13], 1.0
	s_delay_alu instid0(VALU_DEP_2) | instskip(SKIP_1) | instid1(TRANS32_DEP_1)
	v_rcp_f64_e32 v[26:27], v[8:9]
	v_nop
	v_fma_f64 v[10:11], -v[8:9], v[26:27], 1.0
	s_delay_alu instid0(VALU_DEP_1) | instskip(NEXT) | instid1(VALU_DEP_1)
	v_fmac_f64_e32 v[26:27], v[26:27], v[10:11]
	v_fma_f64 v[10:11], -v[8:9], v[26:27], 1.0
	s_delay_alu instid0(VALU_DEP_1) | instskip(NEXT) | instid1(VALU_DEP_1)
	v_fmac_f64_e32 v[26:27], v[26:27], v[10:11]
	v_mul_f64_e32 v[30:31], v[28:29], v[26:27]
	s_delay_alu instid0(VALU_DEP_1)
	v_fma_f64 v[28:29], -v[8:9], v[30:31], v[28:29]
	ds_load_b128 v[8:11], v22
	s_wait_storecnt_dscnt 0x0
	v_mul_f64_e32 v[32:33], v[10:11], v[4:5]
	v_mul_f64_e64 v[4:5], v[4:5], -v[8:9]
	v_div_fmas_f64 v[26:27], v[28:29], v[26:27], v[30:31]
	s_delay_alu instid0(VALU_DEP_3) | instskip(NEXT) | instid1(VALU_DEP_3)
	v_fmac_f64_e32 v[32:33], v[8:9], v[2:3]
	v_fmac_f64_e32 v[4:5], v[10:11], v[2:3]
	s_delay_alu instid0(VALU_DEP_3) | instskip(NEXT) | instid1(VALU_DEP_1)
	v_div_fixup_f64 v[8:9], v[26:27], v[12:13], 1.0
	v_mul_f64_e32 v[2:3], v[32:33], v[8:9]
	s_delay_alu instid0(VALU_DEP_3)
	v_mul_f64_e32 v[4:5], v[4:5], v[8:9]
	s_wait_xcnt 0x0
	s_and_saveexec_b32 s10, s1
; %bb.69:                               ;   in Loop: Header=BB23_54 Depth=1
	ds_store_b128 v22, v[2:5]
; %bb.70:                               ;   in Loop: Header=BB23_54 Depth=1
	s_or_b32 exec_lo, exec_lo, s10
	v_cmp_gt_i32_e32 vcc_lo, s23, v24
	s_and_b32 exec_lo, exec_lo, vcc_lo
	s_cbranch_execz .LBB23_72
; %bb.71:                               ;   in Loop: Header=BB23_54 Depth=1
	ds_load_b128 v[8:11], v20
	ds_load_b128 v[26:29], v15
	s_wait_dscnt 0x0
	v_fma_f64 v[26:27], -v[2:3], v[8:9], v[26:27]
	v_fma_f64 v[8:9], -v[4:5], v[8:9], v[28:29]
	s_delay_alu instid0(VALU_DEP_2) | instskip(NEXT) | instid1(VALU_DEP_2)
	v_fmac_f64_e32 v[26:27], v[4:5], v[10:11]
	v_fma_f64 v[28:29], -v[2:3], v[10:11], v[8:9]
	ds_store_b128 v15, v[26:29]
.LBB23_72:                              ;   in Loop: Header=BB23_54 Depth=1
	s_or_b32 exec_lo, exec_lo, s7
	v_add_nc_u32_e32 v2, 1, v25
	s_and_not1_b32 s3, s3, exec_lo
.LBB23_73:                              ;   in Loop: Header=BB23_54 Depth=1
	s_or_b32 exec_lo, exec_lo, s6
	s_delay_alu instid0(SALU_CYCLE_1) | instskip(SKIP_1) | instid1(SALU_CYCLE_1)
	s_and_not1_b32 s6, s21, exec_lo
	s_and_b32 s7, s21, exec_lo
	s_or_b32 s21, s6, s7
	s_and_saveexec_b32 s6, s3
	s_cbranch_execz .LBB23_53
; %bb.74:                               ;   in Loop: Header=BB23_54 Depth=1
	v_add_nc_u32_e32 v2, 1, v25
	s_or_b32 s21, s21, exec_lo
	s_branch .LBB23_53
.LBB23_75:
	s_mov_b32 s21, -1
	s_branch .LBB23_103
.LBB23_76:
	s_wait_storecnt_dscnt 0x0
	s_and_saveexec_b32 s1, s0
	s_cbranch_execz .LBB23_78
; %bb.77:
	s_cmp_eq_u32 s24, 0
	s_cselect_b32 vcc_lo, -1, 0
	v_dual_cndmask_b32 v2, v1, v18 :: v_dual_cndmask_b32 v7, v18, v1
	s_delay_alu instid0(VALU_DEP_1)
	v_mad_u32 v6, s31, s23, v2
	ds_load_2addr_b64 v[2:5], v14 offset1:1
	v_mad_u32 v6, v6, s23, v7
	s_wait_dscnt 0x0
	global_store_b128 v6, v[2:5], s[8:9] scale_offset
.LBB23_78:
	s_wait_xcnt 0x0
	s_or_b32 exec_lo, exec_lo, s1
.LBB23_79:
	s_add_co_i32 s1, s31, 1
	s_delay_alu instid0(SALU_CYCLE_1)
	s_cmp_ge_i32 s1, s30
	s_cbranch_scc1 .LBB23_103
; %bb.80:
	s_cmp_eq_u32 s24, 0
	v_max_u32_e32 v3, v18, v1
	s_cselect_b32 vcc_lo, -1, 0
	v_dual_cndmask_b32 v7, v1, v18 :: v_dual_lshlrev_b32 v2, 4, v18
	s_cmp_gt_i32 s23, 0
	v_dual_cndmask_b32 v8, v18, v1 :: v_dual_lshlrev_b32 v9, 4, v1
	s_delay_alu instid0(VALU_DEP_2)
	v_add3_u32 v6, v19, v2, 0x480
	v_mul_u32_u24_e32 v2, 0x90, v18
	s_cselect_b32 s2, -1, 0
	s_add_co_i32 s4, s23, -1
	s_and_b32 s3, s23, 3
	s_movk_i32 s6, 0x480
	s_cmp_gt_u32 s4, 2
	v_cmp_gt_u32_e64 s0, s23, v3
	s_cselect_b32 s4, -1, 0
	s_and_b32 s5, s23, 0x7ffffffc
	v_mad_u32_u24 v10, 0x90, v18, s6
	v_add_nc_u32_e32 v11, 16, v9
	v_add3_u32 v12, v2, v9, 0x490
	s_cmp_lg_u32 s3, 0
	s_cselect_b32 s6, -1, 0
	s_branch .LBB23_82
.LBB23_81:                              ;   in Loop: Header=BB23_82 Depth=1
	s_wait_xcnt 0x0
	s_or_b32 exec_lo, exec_lo, s7
	s_add_co_i32 s1, s1, 1
	s_delay_alu instid0(SALU_CYCLE_1)
	s_cmp_lt_i32 s1, s30
	s_cbranch_scc0 .LBB23_103
.LBB23_82:                              ; =>This Loop Header: Depth=1
                                        ;     Child Loop BB23_88 Depth 2
                                        ;     Child Loop BB23_99 Depth 2
	v_mad_u32 v2, s1, s23, v7
	v_mov_b64_e32 v[4:5], 0
	s_wait_storecnt_dscnt 0x0
	s_delay_alu instid0(VALU_DEP_2)
	v_mad_u32 v13, v2, s23, v8
	v_mov_b64_e32 v[2:3], 0
	s_and_saveexec_b32 s7, s0
	s_cbranch_execz .LBB23_84
; %bb.83:                               ;   in Loop: Header=BB23_82 Depth=1
	global_load_b128 v[2:5], v13, s[8:9] scale_offset
.LBB23_84:                              ;   in Loop: Header=BB23_82 Depth=1
	s_wait_xcnt 0x0
	s_or_b32 exec_lo, exec_lo, s7
	s_delay_alu instid0(SALU_CYCLE_1)
	s_and_not1_b32 vcc_lo, exec_lo, s2
	s_wait_loadcnt 0x0
	ds_store_b128 v6, v[2:5]
	s_wait_dscnt 0x0
	s_cbranch_vccnz .LBB23_101
; %bb.85:                               ;   in Loop: Header=BB23_82 Depth=1
	s_and_not1_b32 vcc_lo, exec_lo, s4
	s_mov_b32 s11, 0
	s_cbranch_vccnz .LBB23_96
; %bb.86:                               ;   in Loop: Header=BB23_82 Depth=1
	v_mov_b32_e32 v2, v10
	s_mov_b32 s7, 0
	s_mov_b32 s10, 16
	s_branch .LBB23_88
.LBB23_87:                              ;   in Loop: Header=BB23_88 Depth=2
	s_or_b32 exec_lo, exec_lo, s11
	v_add_nc_u32_e32 v2, 64, v2
	s_add_co_i32 s7, s7, 4
	s_addk_co_i32 s10, 0x280
	s_cmp_eq_u32 s5, s7
	s_mov_b32 s11, s5
	s_cbranch_scc1 .LBB23_96
.LBB23_88:                              ;   Parent Loop BB23_82 Depth=1
                                        ; =>  This Inner Loop Header: Depth=2
	v_add_nc_u32_e32 v5, s7, v1
	v_add_nc_u32_e32 v4, s10, v9
	s_delay_alu instid0(VALU_DEP_2) | instskip(NEXT) | instid1(VALU_DEP_1)
	v_add_nc_u32_e32 v3, 1, v5
	v_cmp_gt_i32_e32 vcc_lo, s23, v3
	v_add_nc_u32_e32 v3, v2, v9
	s_and_saveexec_b32 s11, vcc_lo
	s_cbranch_execz .LBB23_90
; %bb.89:                               ;   in Loop: Header=BB23_88 Depth=2
	ds_load_b128 v[18:21], v4
	ds_load_b128 v[22:25], v2
	ds_load_b128 v[26:29], v3 offset:16
	s_wait_dscnt 0x0
	v_fma_f64 v[26:27], -v[18:19], v[22:23], v[26:27]
	v_fma_f64 v[14:15], -v[20:21], v[22:23], v[28:29]
	s_delay_alu instid0(VALU_DEP_2) | instskip(NEXT) | instid1(VALU_DEP_2)
	v_fmac_f64_e32 v[26:27], v[20:21], v[24:25]
	v_fma_f64 v[28:29], -v[18:19], v[24:25], v[14:15]
	ds_store_b128 v3, v[26:29] offset:16
.LBB23_90:                              ;   in Loop: Header=BB23_88 Depth=2
	s_or_b32 exec_lo, exec_lo, s11
	v_add_nc_u32_e32 v14, 2, v5
	s_mov_b32 s11, exec_lo
	s_delay_alu instid0(VALU_DEP_1)
	v_cmpx_gt_i32_e64 s23, v14
	s_cbranch_execz .LBB23_92
; %bb.91:                               ;   in Loop: Header=BB23_88 Depth=2
	ds_load_b128 v[18:21], v4 offset:160
	ds_load_b128 v[22:25], v2 offset:16
	;; [unrolled: 1-line block ×3, first 2 shown]
	s_wait_dscnt 0x0
	v_fma_f64 v[26:27], -v[18:19], v[22:23], v[26:27]
	v_fma_f64 v[14:15], -v[20:21], v[22:23], v[28:29]
	s_delay_alu instid0(VALU_DEP_2) | instskip(NEXT) | instid1(VALU_DEP_2)
	v_fmac_f64_e32 v[26:27], v[20:21], v[24:25]
	v_fma_f64 v[28:29], -v[18:19], v[24:25], v[14:15]
	ds_store_b128 v3, v[26:29] offset:32
.LBB23_92:                              ;   in Loop: Header=BB23_88 Depth=2
	s_or_b32 exec_lo, exec_lo, s11
	v_add_nc_u32_e32 v14, 3, v5
	s_mov_b32 s11, exec_lo
	s_delay_alu instid0(VALU_DEP_1)
	v_cmpx_gt_i32_e64 s23, v14
	s_cbranch_execz .LBB23_94
; %bb.93:                               ;   in Loop: Header=BB23_88 Depth=2
	ds_load_b128 v[18:21], v4 offset:320
	ds_load_b128 v[22:25], v2 offset:32
	;; [unrolled: 1-line block ×3, first 2 shown]
	s_wait_dscnt 0x0
	v_fma_f64 v[26:27], -v[18:19], v[22:23], v[26:27]
	v_fma_f64 v[14:15], -v[20:21], v[22:23], v[28:29]
	s_delay_alu instid0(VALU_DEP_2) | instskip(NEXT) | instid1(VALU_DEP_2)
	v_fmac_f64_e32 v[26:27], v[20:21], v[24:25]
	v_fma_f64 v[28:29], -v[18:19], v[24:25], v[14:15]
	ds_store_b128 v3, v[26:29] offset:48
.LBB23_94:                              ;   in Loop: Header=BB23_88 Depth=2
	s_or_b32 exec_lo, exec_lo, s11
	v_add_nc_u32_e32 v5, 4, v5
	s_mov_b32 s11, exec_lo
	s_delay_alu instid0(VALU_DEP_1)
	v_cmpx_gt_i32_e64 s23, v5
	s_cbranch_execz .LBB23_87
; %bb.95:                               ;   in Loop: Header=BB23_88 Depth=2
	ds_load_b128 v[18:21], v4 offset:480
	ds_load_b128 v[22:25], v2 offset:48
	ds_load_b128 v[26:29], v3 offset:64
	s_wait_dscnt 0x0
	v_fma_f64 v[26:27], -v[18:19], v[22:23], v[26:27]
	v_fma_f64 v[4:5], -v[20:21], v[22:23], v[28:29]
	s_delay_alu instid0(VALU_DEP_2) | instskip(NEXT) | instid1(VALU_DEP_2)
	v_fmac_f64_e32 v[26:27], v[20:21], v[24:25]
	v_fma_f64 v[28:29], -v[18:19], v[24:25], v[4:5]
	ds_store_b128 v3, v[26:29] offset:64
	s_branch .LBB23_87
.LBB23_96:                              ;   in Loop: Header=BB23_82 Depth=1
	s_and_not1_b32 vcc_lo, exec_lo, s6
	s_cbranch_vccnz .LBB23_101
; %bb.97:                               ;   in Loop: Header=BB23_82 Depth=1
	v_mad_u32 v2, 0xa0, s11, v11
	s_lshl_b32 s7, s11, 4
	v_add_nc_u32_e32 v5, s11, v16
	v_dual_add_nc_u32 v3, s7, v12 :: v_dual_add_nc_u32 v4, s7, v10
	s_mov_b32 s7, s3
	s_branch .LBB23_99
.LBB23_98:                              ;   in Loop: Header=BB23_99 Depth=2
	s_or_b32 exec_lo, exec_lo, s10
	s_delay_alu instid0(VALU_DEP_4) | instskip(SKIP_3) | instid1(SALU_CYCLE_1)
	v_add_nc_u32_e32 v2, 0xa0, v2
	v_dual_add_nc_u32 v3, 16, v3 :: v_dual_add_nc_u32 v4, 16, v4
	v_add_nc_u32_e32 v5, 1, v5
	s_add_co_i32 s7, s7, -1
	s_cmp_lg_u32 s7, 0
	s_cbranch_scc0 .LBB23_101
.LBB23_99:                              ;   Parent Loop BB23_82 Depth=1
                                        ; =>  This Inner Loop Header: Depth=2
	s_mov_b32 s10, exec_lo
	v_cmpx_gt_i32_e64 s23, v5
	s_cbranch_execz .LBB23_98
; %bb.100:                              ;   in Loop: Header=BB23_99 Depth=2
	ds_load_b128 v[18:21], v2
	ds_load_b128 v[22:25], v4
	;; [unrolled: 1-line block ×3, first 2 shown]
	s_wait_dscnt 0x0
	v_fma_f64 v[26:27], -v[18:19], v[22:23], v[26:27]
	v_fma_f64 v[14:15], -v[20:21], v[22:23], v[28:29]
	s_delay_alu instid0(VALU_DEP_2) | instskip(NEXT) | instid1(VALU_DEP_2)
	v_fmac_f64_e32 v[26:27], v[20:21], v[24:25]
	v_fma_f64 v[28:29], -v[18:19], v[24:25], v[14:15]
	ds_store_b128 v3, v[26:29]
	s_branch .LBB23_98
.LBB23_101:                             ;   in Loop: Header=BB23_82 Depth=1
	s_wait_dscnt 0x0
	s_and_saveexec_b32 s7, s0
	s_cbranch_execz .LBB23_81
; %bb.102:                              ;   in Loop: Header=BB23_82 Depth=1
	ds_load_2addr_b64 v[2:5], v6 offset1:1
	s_wait_dscnt 0x0
	global_store_b128 v13, v[2:5], s[8:9] scale_offset
	s_branch .LBB23_81
.LBB23_103:
	v_and_b32_e32 v0, 0xfffff, v0
	s_mov_b32 s0, exec_lo
	s_delay_alu instid0(VALU_DEP_1)
	v_cmpx_eq_u32_e32 0, v0
	s_cbranch_execz .LBB23_107
; %bb.104:
	v_dual_mov_b32 v0, 0 :: v_dual_mov_b32 v1, 1
	s_add_nc_u64 s[0:1], s[16:17], s[18:19]
	global_wb scope:SCOPE_DEV
	s_wait_storecnt_dscnt 0x0
	global_store_b32 v0, v1, s[0:1] scope:SCOPE_DEV
	s_wait_xcnt 0x0
	s_and_b32 exec_lo, exec_lo, s21
	s_cbranch_execz .LBB23_107
; %bb.105:
	v_mbcnt_lo_u32_b32 v0, exec_lo, 0
	s_delay_alu instid0(VALU_DEP_1)
	v_cmp_eq_u32_e32 vcc_lo, 0, v0
	s_and_b32 exec_lo, exec_lo, vcc_lo
	s_cbranch_execz .LBB23_107
; %bb.106:
	s_add_co_i32 s0, s22, s20
	s_delay_alu instid0(SALU_CYCLE_1)
	v_dual_mov_b32 v0, 0 :: v_dual_mov_b32 v1, s0
	global_atomic_min_i32 v0, v1, s[14:15] scope:SCOPE_DEV
.LBB23_107:
	s_endpgm
	.section	.rodata,"a",@progbits
	.p2align	6, 0x0
	.amdhsa_kernel _ZN9rocsparseL11bsrilu0_2_8ILj64ELj64ELj8E21rocsparse_complex_numIdEEEv20rocsparse_direction_iPKiS5_PT2_S5_iPiS5_S8_21rocsparse_index_base_imNS_24const_host_device_scalarIfEENSA_IdEENSA_IS6_EEb
		.amdhsa_group_segment_fixed_size 2304
		.amdhsa_private_segment_fixed_size 48
		.amdhsa_kernarg_size 384
		.amdhsa_user_sgpr_count 2
		.amdhsa_user_sgpr_dispatch_ptr 0
		.amdhsa_user_sgpr_queue_ptr 0
		.amdhsa_user_sgpr_kernarg_segment_ptr 1
		.amdhsa_user_sgpr_dispatch_id 0
		.amdhsa_user_sgpr_kernarg_preload_length 0
		.amdhsa_user_sgpr_kernarg_preload_offset 0
		.amdhsa_user_sgpr_private_segment_size 0
		.amdhsa_wavefront_size32 1
		.amdhsa_uses_dynamic_stack 0
		.amdhsa_enable_private_segment 1
		.amdhsa_system_sgpr_workgroup_id_x 1
		.amdhsa_system_sgpr_workgroup_id_y 0
		.amdhsa_system_sgpr_workgroup_id_z 0
		.amdhsa_system_sgpr_workgroup_info 0
		.amdhsa_system_vgpr_workitem_id 1
		.amdhsa_next_free_vgpr 40
		.amdhsa_next_free_sgpr 39
		.amdhsa_named_barrier_count 0
		.amdhsa_reserve_vcc 1
		.amdhsa_float_round_mode_32 0
		.amdhsa_float_round_mode_16_64 0
		.amdhsa_float_denorm_mode_32 3
		.amdhsa_float_denorm_mode_16_64 3
		.amdhsa_fp16_overflow 0
		.amdhsa_memory_ordered 1
		.amdhsa_forward_progress 1
		.amdhsa_inst_pref_size 37
		.amdhsa_round_robin_scheduling 0
		.amdhsa_exception_fp_ieee_invalid_op 0
		.amdhsa_exception_fp_denorm_src 0
		.amdhsa_exception_fp_ieee_div_zero 0
		.amdhsa_exception_fp_ieee_overflow 0
		.amdhsa_exception_fp_ieee_underflow 0
		.amdhsa_exception_fp_ieee_inexact 0
		.amdhsa_exception_int_div_zero 0
	.end_amdhsa_kernel
	.section	.text._ZN9rocsparseL11bsrilu0_2_8ILj64ELj64ELj8E21rocsparse_complex_numIdEEEv20rocsparse_direction_iPKiS5_PT2_S5_iPiS5_S8_21rocsparse_index_base_imNS_24const_host_device_scalarIfEENSA_IdEENSA_IS6_EEb,"axG",@progbits,_ZN9rocsparseL11bsrilu0_2_8ILj64ELj64ELj8E21rocsparse_complex_numIdEEEv20rocsparse_direction_iPKiS5_PT2_S5_iPiS5_S8_21rocsparse_index_base_imNS_24const_host_device_scalarIfEENSA_IdEENSA_IS6_EEb,comdat
.Lfunc_end23:
	.size	_ZN9rocsparseL11bsrilu0_2_8ILj64ELj64ELj8E21rocsparse_complex_numIdEEEv20rocsparse_direction_iPKiS5_PT2_S5_iPiS5_S8_21rocsparse_index_base_imNS_24const_host_device_scalarIfEENSA_IdEENSA_IS6_EEb, .Lfunc_end23-_ZN9rocsparseL11bsrilu0_2_8ILj64ELj64ELj8E21rocsparse_complex_numIdEEEv20rocsparse_direction_iPKiS5_PT2_S5_iPiS5_S8_21rocsparse_index_base_imNS_24const_host_device_scalarIfEENSA_IdEENSA_IS6_EEb
                                        ; -- End function
	.set _ZN9rocsparseL11bsrilu0_2_8ILj64ELj64ELj8E21rocsparse_complex_numIdEEEv20rocsparse_direction_iPKiS5_PT2_S5_iPiS5_S8_21rocsparse_index_base_imNS_24const_host_device_scalarIfEENSA_IdEENSA_IS6_EEb.num_vgpr, 40
	.set _ZN9rocsparseL11bsrilu0_2_8ILj64ELj64ELj8E21rocsparse_complex_numIdEEEv20rocsparse_direction_iPKiS5_PT2_S5_iPiS5_S8_21rocsparse_index_base_imNS_24const_host_device_scalarIfEENSA_IdEENSA_IS6_EEb.num_agpr, 0
	.set _ZN9rocsparseL11bsrilu0_2_8ILj64ELj64ELj8E21rocsparse_complex_numIdEEEv20rocsparse_direction_iPKiS5_PT2_S5_iPiS5_S8_21rocsparse_index_base_imNS_24const_host_device_scalarIfEENSA_IdEENSA_IS6_EEb.numbered_sgpr, 39
	.set _ZN9rocsparseL11bsrilu0_2_8ILj64ELj64ELj8E21rocsparse_complex_numIdEEEv20rocsparse_direction_iPKiS5_PT2_S5_iPiS5_S8_21rocsparse_index_base_imNS_24const_host_device_scalarIfEENSA_IdEENSA_IS6_EEb.num_named_barrier, 0
	.set _ZN9rocsparseL11bsrilu0_2_8ILj64ELj64ELj8E21rocsparse_complex_numIdEEEv20rocsparse_direction_iPKiS5_PT2_S5_iPiS5_S8_21rocsparse_index_base_imNS_24const_host_device_scalarIfEENSA_IdEENSA_IS6_EEb.private_seg_size, 48
	.set _ZN9rocsparseL11bsrilu0_2_8ILj64ELj64ELj8E21rocsparse_complex_numIdEEEv20rocsparse_direction_iPKiS5_PT2_S5_iPiS5_S8_21rocsparse_index_base_imNS_24const_host_device_scalarIfEENSA_IdEENSA_IS6_EEb.uses_vcc, 1
	.set _ZN9rocsparseL11bsrilu0_2_8ILj64ELj64ELj8E21rocsparse_complex_numIdEEEv20rocsparse_direction_iPKiS5_PT2_S5_iPiS5_S8_21rocsparse_index_base_imNS_24const_host_device_scalarIfEENSA_IdEENSA_IS6_EEb.uses_flat_scratch, 0
	.set _ZN9rocsparseL11bsrilu0_2_8ILj64ELj64ELj8E21rocsparse_complex_numIdEEEv20rocsparse_direction_iPKiS5_PT2_S5_iPiS5_S8_21rocsparse_index_base_imNS_24const_host_device_scalarIfEENSA_IdEENSA_IS6_EEb.has_dyn_sized_stack, 0
	.set _ZN9rocsparseL11bsrilu0_2_8ILj64ELj64ELj8E21rocsparse_complex_numIdEEEv20rocsparse_direction_iPKiS5_PT2_S5_iPiS5_S8_21rocsparse_index_base_imNS_24const_host_device_scalarIfEENSA_IdEENSA_IS6_EEb.has_recursion, 0
	.set _ZN9rocsparseL11bsrilu0_2_8ILj64ELj64ELj8E21rocsparse_complex_numIdEEEv20rocsparse_direction_iPKiS5_PT2_S5_iPiS5_S8_21rocsparse_index_base_imNS_24const_host_device_scalarIfEENSA_IdEENSA_IS6_EEb.has_indirect_call, 0
	.section	.AMDGPU.csdata,"",@progbits
; Kernel info:
; codeLenInByte = 4632
; TotalNumSgprs: 41
; NumVgprs: 40
; ScratchSize: 48
; MemoryBound: 0
; FloatMode: 240
; IeeeMode: 1
; LDSByteSize: 2304 bytes/workgroup (compile time only)
; SGPRBlocks: 0
; VGPRBlocks: 2
; NumSGPRsForWavesPerEU: 41
; NumVGPRsForWavesPerEU: 40
; NamedBarCnt: 0
; Occupancy: 16
; WaveLimiterHint : 1
; COMPUTE_PGM_RSRC2:SCRATCH_EN: 1
; COMPUTE_PGM_RSRC2:USER_SGPR: 2
; COMPUTE_PGM_RSRC2:TRAP_HANDLER: 0
; COMPUTE_PGM_RSRC2:TGID_X_EN: 1
; COMPUTE_PGM_RSRC2:TGID_Y_EN: 0
; COMPUTE_PGM_RSRC2:TGID_Z_EN: 0
; COMPUTE_PGM_RSRC2:TIDIG_COMP_CNT: 1
	.section	.text._ZN9rocsparseL12bsrilu0_9_32ILj64ELj64ELj16E21rocsparse_complex_numIdEEEv20rocsparse_direction_iPKiS5_PT2_S5_iPiS5_S8_21rocsparse_index_base_imNS_24const_host_device_scalarIfEENSA_IdEENSA_IS6_EEb,"axG",@progbits,_ZN9rocsparseL12bsrilu0_9_32ILj64ELj64ELj16E21rocsparse_complex_numIdEEEv20rocsparse_direction_iPKiS5_PT2_S5_iPiS5_S8_21rocsparse_index_base_imNS_24const_host_device_scalarIfEENSA_IdEENSA_IS6_EEb,comdat
	.globl	_ZN9rocsparseL12bsrilu0_9_32ILj64ELj64ELj16E21rocsparse_complex_numIdEEEv20rocsparse_direction_iPKiS5_PT2_S5_iPiS5_S8_21rocsparse_index_base_imNS_24const_host_device_scalarIfEENSA_IdEENSA_IS6_EEb ; -- Begin function _ZN9rocsparseL12bsrilu0_9_32ILj64ELj64ELj16E21rocsparse_complex_numIdEEEv20rocsparse_direction_iPKiS5_PT2_S5_iPiS5_S8_21rocsparse_index_base_imNS_24const_host_device_scalarIfEENSA_IdEENSA_IS6_EEb
	.p2align	8
	.type	_ZN9rocsparseL12bsrilu0_9_32ILj64ELj64ELj16E21rocsparse_complex_numIdEEEv20rocsparse_direction_iPKiS5_PT2_S5_iPiS5_S8_21rocsparse_index_base_imNS_24const_host_device_scalarIfEENSA_IdEENSA_IS6_EEb,@function
_ZN9rocsparseL12bsrilu0_9_32ILj64ELj64ELj16E21rocsparse_complex_numIdEEEv20rocsparse_direction_iPKiS5_PT2_S5_iPiS5_S8_21rocsparse_index_base_imNS_24const_host_device_scalarIfEENSA_IdEENSA_IS6_EEb: ; @_ZN9rocsparseL12bsrilu0_9_32ILj64ELj64ELj16E21rocsparse_complex_numIdEEEv20rocsparse_direction_iPKiS5_PT2_S5_iPiS5_S8_21rocsparse_index_base_imNS_24const_host_device_scalarIfEENSA_IdEENSA_IS6_EEb
; %bb.0:
	s_clause 0x2
	s_load_b96 s[4:6], s[0:1], 0x70
	s_load_b64 s[24:25], s[0:1], 0x48
	s_load_b256 s[16:23], s[0:1], 0x50
	s_wait_kmcnt 0x0
	s_bitcmp1_b32 s6, 0
	s_cselect_b32 s2, -1, 0
	s_cmp_eq_u32 s25, 0
	v_mov_b64_e32 v[2:3], s[22:23]
	s_cselect_b32 s6, -1, 0
	s_cmp_lg_u32 s25, 0
	s_cselect_b32 s3, -1, 0
	s_or_b32 s9, s6, s2
	s_delay_alu instid0(SALU_CYCLE_1)
	s_xor_b32 s8, s9, -1
	s_and_b32 s6, s6, exec_lo
	s_cselect_b32 s7, 0, s21
	s_cselect_b32 s6, 0, s20
	;; [unrolled: 1-line block ×3, first 2 shown]
	s_and_b32 vcc_lo, exec_lo, s9
	scratch_store_b64 off, v[2:3], off offset:32
	s_cbranch_vccnz .LBB24_2
; %bb.1:
	s_load_b32 s33, s[18:19], 0x0
	s_mov_b64 s[6:7], s[20:21]
.LBB24_2:
	s_delay_alu instid0(SALU_CYCLE_1)
	v_mov_b64_e32 v[10:11], s[6:7]
	s_and_not1_b32 vcc_lo, exec_lo, s8
	s_cbranch_vccnz .LBB24_4
; %bb.3:
	v_mov_b32_e32 v1, 0
	flat_load_b64 v[10:11], v1, s[20:21]
.LBB24_4:
	s_wait_xcnt 0x0
	v_mov_b64_e32 v[2:3], 0
	v_mov_b64_e32 v[4:5], 0
	v_cndmask_b32_e64 v1, 0, 1, s3
	s_and_not1_b32 vcc_lo, exec_lo, s3
	s_cbranch_vccnz .LBB24_7
; %bb.5:
	v_mbcnt_lo_u32_b32 v3, -1, 0
	v_mov_b32_e32 v2, 32
	v_mov_b64_e32 v[4:5], s[4:5]
	s_delay_alu instid0(VALU_DEP_3) | instskip(NEXT) | instid1(VALU_DEP_1)
	v_lshlrev_b32_e32 v3, 20, v3
	v_add_nc_u64_e32 v[2:3], src_flat_scratch_base_lo, v[2:3]
	s_delay_alu instid0(VALU_DEP_1) | instskip(NEXT) | instid1(VALU_DEP_2)
	v_cndmask_b32_e64 v3, s23, v3, s2
	v_cndmask_b32_e64 v2, s22, v2, s2
	s_xor_b32 s2, s2, -1
	s_delay_alu instid0(SALU_CYCLE_1)
	s_and_not1_b32 vcc_lo, exec_lo, s2
	flat_load_b64 v[2:3], v[2:3]
	s_cbranch_vccnz .LBB24_7
; %bb.6:
	v_mov_b32_e32 v4, 0
	flat_load_b64 v[4:5], v4, s[22:23] offset:8
.LBB24_7:
	s_wait_xcnt 0x0
	s_load_b128 s[20:23], s[0:1], 0x30
	s_bfe_u32 s2, ttmp6, 0x4000c
	s_and_b32 s3, ttmp6, 15
	s_add_co_i32 s2, s2, 1
	s_getreg_b32 s4, hwreg(HW_REG_IB_STS2, 6, 4)
	s_mul_i32 s2, ttmp9, s2
	s_mov_b32 s31, 0
	s_add_co_i32 s3, s3, s2
	s_cmp_eq_u32 s4, 0
	s_cselect_b32 s2, ttmp9, s3
	s_load_b64 s[18:19], s[0:1], 0x40
	s_wait_kmcnt 0x0
	s_load_b32 s26, s[22:23], s2 offset:0x0 scale_offset
	s_load_b256 s[8:15], s[0:1], 0x8
	s_wait_loadcnt_dscnt 0x0
	scratch_store_b128 off, v[2:5], off
	s_wait_kmcnt 0x0
	s_ashr_i32 s27, s26, 31
	s_delay_alu instid0(SALU_CYCLE_1) | instskip(NEXT) | instid1(SALU_CYCLE_1)
	s_lshl_b64 s[22:23], s[26:27], 2
	s_add_nc_u64 s[2:3], s[14:15], s[22:23]
	s_load_b32 s30, s[2:3], 0x0
	s_wait_kmcnt 0x0
	s_cmp_eq_u32 s30, -1
	s_cbranch_scc1 .LBB24_104
; %bb.8:
	s_add_nc_u64 s[2:3], s[8:9], s[22:23]
	s_load_b64 s[4:5], s[2:3], 0x0
	s_clause 0x1
	s_load_b64 s[28:29], s[0:1], 0x0
	s_load_b32 s25, s[0:1], 0x28
	s_wait_kmcnt 0x0
	s_sub_co_i32 s34, s4, s24
	s_sub_co_i32 s27, s5, s24
	s_cmp_ge_i32 s34, s30
	s_cbranch_scc1 .LBB24_93
; %bb.9:
	v_and_b32_e32 v19, 0x3ff, v0
	v_bfe_u32 v18, v0, 10, 10
	s_cmp_lg_u32 s28, 0
	s_mul_i32 s37, s25, s25
	s_cselect_b32 s35, -1, 0
	v_mad_u32 v3, s25, s34, v19
	v_dual_lshlrev_b32 v2, 4, v18 :: v_dual_add_nc_u32 v20, 1, v18
	v_cmp_gt_i32_e64 s0, s25, v19
	v_cmp_le_i32_e64 s1, s25, v19
	v_cmp_gt_i32_e64 s2, s25, v18
	s_delay_alu instid0(VALU_DEP_4)
	v_add3_u32 v12, v2, v19, s34
	v_lshlrev_b32_e32 v2, 4, v19
	v_cmp_eq_u32_e64 s3, 0, v18
	v_mul_u32_u24_e32 v22, 0x110, v18
	v_mad_u32_u24 v25, 0x110, v18, 0x110
	v_mul_lo_u32 v23, s25, v3
	v_ashrrev_i32_e32 v13, 31, v12
	v_mad_u32_u24 v21, 0x110, v18, v2
	v_cmp_gt_i32_e64 s4, s27, v12
	v_dual_mov_b32 v27, 0 :: v_dual_add_nc_u32 v26, 0x1100, v2
	s_delay_alu instid0(VALU_DEP_4) | instskip(NEXT) | instid1(VALU_DEP_4)
	v_lshl_add_u64 v[14:15], v[12:13], 2, s[10:11]
	v_add_nc_u32_e32 v13, 0x1100, v21
	v_add_nc_u32_e32 v24, 0x1210, v21
	s_cmp_gt_i32 s25, 0
	s_cselect_b32 s36, -1, 0
	s_add_co_i32 s29, s29, 1
	s_lshl_b32 s38, s25, 4
	s_branch .LBB24_12
.LBB24_10:                              ;   in Loop: Header=BB24_12 Depth=1
	s_mov_b32 s31, -1
.LBB24_11:                              ;   in Loop: Header=BB24_12 Depth=1
	s_add_co_i32 s34, s34, 1
	v_add_nc_u32_e32 v23, s37, v23
	s_cmp_lt_i32 s34, s30
	s_cselect_b32 s6, -1, 0
	s_delay_alu instid0(SALU_CYCLE_1) | instskip(NEXT) | instid1(SALU_CYCLE_1)
	s_and_b32 s5, s5, s6
	s_and_b32 vcc_lo, exec_lo, s5
	s_cbranch_vccz .LBB24_93
.LBB24_12:                              ; =>This Loop Header: Depth=1
                                        ;     Child Loop BB24_15 Depth 2
                                        ;       Child Loop BB24_18 Depth 3
                                        ;     Child Loop BB24_24 Depth 2
                                        ;     Child Loop BB24_28 Depth 2
                                        ;       Child Loop BB24_31 Depth 3
                                        ;     Child Loop BB24_38 Depth 2
                                        ;       Child Loop BB24_41 Depth 3
                                        ;         Child Loop BB24_45 Depth 4
                                        ;     Child Loop BB24_49 Depth 2
                                        ;       Child Loop BB24_52 Depth 3
                                        ;     Child Loop BB24_61 Depth 2
                                        ;       Child Loop BB24_66 Depth 3
                                        ;       Child Loop BB24_75 Depth 3
                                        ;         Child Loop BB24_78 Depth 4
                                        ;       Child Loop BB24_84 Depth 3
                                        ;         Child Loop BB24_87 Depth 4
                                        ;           Child Loop BB24_88 Depth 5
	s_wait_xcnt 0x0
	v_mov_b32_e32 v2, s34
	global_load_b32 v2, v2, s[10:11] scale_offset
	s_wait_loadcnt 0x0
	v_readfirstlane_b32 s5, v2
	s_wait_xcnt 0x0
	s_and_saveexec_b32 s6, s0
	s_cbranch_execz .LBB24_22
; %bb.13:                               ;   in Loop: Header=BB24_12 Depth=1
	v_dual_mov_b32 v2, v13 :: v_dual_mov_b32 v3, v23
	v_mov_b32_e32 v4, v19
	s_mul_i32 s7, s34, s25
	s_mov_b32 s39, 0
	s_branch .LBB24_15
.LBB24_14:                              ;   in Loop: Header=BB24_15 Depth=2
	s_or_b32 exec_lo, exec_lo, s40
	v_dual_add_nc_u32 v4, 16, v4 :: v_dual_add_nc_u32 v3, s38, v3
	v_add_nc_u32_e32 v2, 0x100, v2
	s_delay_alu instid0(VALU_DEP_2) | instskip(SKIP_1) | instid1(SALU_CYCLE_1)
	v_cmp_le_i32_e32 vcc_lo, s25, v4
	s_or_b32 s39, vcc_lo, s39
	s_and_not1_b32 exec_lo, exec_lo, s39
	s_cbranch_execz .LBB24_22
.LBB24_15:                              ;   Parent Loop BB24_12 Depth=1
                                        ; =>  This Loop Header: Depth=2
                                        ;       Child Loop BB24_18 Depth 3
	s_and_saveexec_b32 s40, s2
	s_cbranch_execz .LBB24_14
; %bb.16:                               ;   in Loop: Header=BB24_15 Depth=2
	v_dual_mov_b32 v5, v2 :: v_dual_mov_b32 v6, v18
	s_mov_b32 s41, 0
	s_branch .LBB24_18
.LBB24_17:                              ;   in Loop: Header=BB24_18 Depth=3
	global_load_b128 v[28:31], v7, s[12:13] scale_offset
	v_add_nc_u32_e32 v6, 4, v6
	s_delay_alu instid0(VALU_DEP_1)
	v_cmp_le_i32_e32 vcc_lo, s25, v6
	s_or_b32 s41, vcc_lo, s41
	s_wait_loadcnt 0x0
	ds_store_2addr_b64 v5, v[28:29], v[30:31] offset1:1
	v_add_nc_u32_e32 v5, 0x440, v5
	s_wait_xcnt 0x0
	s_and_not1_b32 exec_lo, exec_lo, s41
	s_cbranch_execz .LBB24_14
.LBB24_18:                              ;   Parent Loop BB24_12 Depth=1
                                        ;     Parent Loop BB24_15 Depth=2
                                        ; =>    This Inner Loop Header: Depth=3
	s_and_b32 vcc_lo, exec_lo, s35
	s_cbranch_vccz .LBB24_20
; %bb.19:                               ;   in Loop: Header=BB24_18 Depth=3
	v_add_nc_u32_e32 v7, s7, v6
	s_delay_alu instid0(VALU_DEP_1)
	v_mad_u32 v7, v7, s25, v4
	s_cbranch_execnz .LBB24_17
	s_branch .LBB24_21
.LBB24_20:                              ;   in Loop: Header=BB24_18 Depth=3
                                        ; implicit-def: $vgpr7
.LBB24_21:                              ;   in Loop: Header=BB24_18 Depth=3
	v_add_nc_u32_e32 v7, v3, v6
	s_branch .LBB24_17
.LBB24_22:                              ;   in Loop: Header=BB24_12 Depth=1
	s_or_b32 exec_lo, exec_lo, s6
	s_sub_co_i32 s6, s5, s24
	s_delay_alu instid0(SALU_CYCLE_1)
	v_mov_b32_e32 v2, s6
	global_load_b32 v2, v2, s[14:15] scale_offset
	s_wait_loadcnt 0x0
	v_cmp_eq_u32_e32 vcc_lo, -1, v2
	v_readfirstlane_b32 s39, v2
	v_cmp_ne_u32_e64 s5, -1, v2
	s_cbranch_vccnz .LBB24_10
; %bb.23:                               ;   in Loop: Header=BB24_12 Depth=1
	s_ashr_i32 s7, s6, 31
	s_delay_alu instid0(SALU_CYCLE_1) | instskip(NEXT) | instid1(SALU_CYCLE_1)
	s_lshl_b64 s[6:7], s[6:7], 2
	s_add_nc_u64 s[40:41], s[8:9], s[6:7]
	s_add_nc_u64 s[6:7], s[20:21], s[6:7]
	global_load_b32 v2, v27, s[40:41] offset:4
	s_wait_loadcnt 0x0
	s_wait_xcnt 0x0
	v_readfirstlane_b32 s40, v2
.LBB24_24:                              ;   Parent Loop BB24_12 Depth=1
                                        ; =>  This Inner Loop Header: Depth=2
	global_load_b32 v2, v27, s[6:7] scope:SCOPE_DEV
	s_wait_loadcnt 0x0
	v_cmp_eq_u32_e32 vcc_lo, 0, v2
	s_cbranch_vccnz .LBB24_24
; %bb.25:                               ;   in Loop: Header=BB24_12 Depth=1
	s_wait_storecnt_dscnt 0x0
	global_inv scope:SCOPE_DEV
	s_wait_xcnt 0x0
	s_and_saveexec_b32 s6, s0
	s_cbranch_execz .LBB24_35
; %bb.26:                               ;   in Loop: Header=BB24_12 Depth=1
	s_mul_i32 s7, s39, s25
	s_delay_alu instid0(SALU_CYCLE_1) | instskip(SKIP_2) | instid1(VALU_DEP_2)
	v_dual_mov_b32 v4, v19 :: v_dual_add_nc_u32 v2, s7, v19
	v_mov_b32_e32 v3, v21
	s_mov_b32 s41, 0
	v_mul_lo_u32 v2, s25, v2
	s_branch .LBB24_28
.LBB24_27:                              ;   in Loop: Header=BB24_28 Depth=2
	s_or_b32 exec_lo, exec_lo, s42
	s_delay_alu instid0(VALU_DEP_1) | instskip(SKIP_1) | instid1(VALU_DEP_2)
	v_dual_add_nc_u32 v4, 16, v4 :: v_dual_add_nc_u32 v2, s38, v2
	v_add_nc_u32_e32 v3, 0x100, v3
	v_cmp_le_i32_e32 vcc_lo, s25, v4
	s_or_b32 s41, vcc_lo, s41
	s_delay_alu instid0(SALU_CYCLE_1)
	s_and_not1_b32 exec_lo, exec_lo, s41
	s_cbranch_execz .LBB24_35
.LBB24_28:                              ;   Parent Loop BB24_12 Depth=1
                                        ; =>  This Loop Header: Depth=2
                                        ;       Child Loop BB24_31 Depth 3
	s_and_saveexec_b32 s42, s2
	s_cbranch_execz .LBB24_27
; %bb.29:                               ;   in Loop: Header=BB24_28 Depth=2
	v_dual_mov_b32 v5, v3 :: v_dual_mov_b32 v6, v18
	s_mov_b32 s43, 0
	s_branch .LBB24_31
.LBB24_30:                              ;   in Loop: Header=BB24_31 Depth=3
	global_load_b128 v[28:31], v7, s[12:13] scale_offset
	v_add_nc_u32_e32 v6, 4, v6
	s_delay_alu instid0(VALU_DEP_1)
	v_cmp_le_i32_e32 vcc_lo, s25, v6
	s_or_b32 s43, vcc_lo, s43
	s_wait_loadcnt 0x0
	ds_store_2addr_b64 v5, v[28:29], v[30:31] offset1:1
	v_add_nc_u32_e32 v5, 0x440, v5
	s_wait_xcnt 0x0
	s_and_not1_b32 exec_lo, exec_lo, s43
	s_cbranch_execz .LBB24_27
.LBB24_31:                              ;   Parent Loop BB24_12 Depth=1
                                        ;     Parent Loop BB24_28 Depth=2
                                        ; =>    This Inner Loop Header: Depth=3
	s_and_b32 vcc_lo, exec_lo, s35
	s_cbranch_vccz .LBB24_33
; %bb.32:                               ;   in Loop: Header=BB24_31 Depth=3
	v_add_nc_u32_e32 v7, s7, v6
	s_delay_alu instid0(VALU_DEP_1)
	v_mad_u32 v7, v7, s25, v4
	s_cbranch_execnz .LBB24_30
	s_branch .LBB24_34
.LBB24_33:                              ;   in Loop: Header=BB24_31 Depth=3
                                        ; implicit-def: $vgpr7
.LBB24_34:                              ;   in Loop: Header=BB24_31 Depth=3
	s_delay_alu instid0(VALU_DEP_2)
	v_add_nc_u32_e32 v7, v2, v6
	s_branch .LBB24_30
.LBB24_35:                              ;   in Loop: Header=BB24_12 Depth=1
	s_or_b32 exec_lo, exec_lo, s6
	s_delay_alu instid0(SALU_CYCLE_1)
	s_and_not1_b32 vcc_lo, exec_lo, s36
	s_wait_loadcnt_dscnt 0x0
	s_cbranch_vccnz .LBB24_46
; %bb.36:                               ;   in Loop: Header=BB24_12 Depth=1
	v_dual_mov_b32 v28, v25 :: v_dual_mov_b32 v29, v24
	s_mov_b32 s7, 0
	s_branch .LBB24_38
.LBB24_37:                              ;   in Loop: Header=BB24_38 Depth=2
	s_or_b32 exec_lo, exec_lo, s41
	v_add_nc_u32_e32 v29, 0x110, v29
	v_add_nc_u32_e32 v28, 0x120, v28
	s_add_co_i32 s7, s7, 1
	s_wait_dscnt 0x0
	s_cmp_eq_u32 s7, s25
	s_cbranch_scc1 .LBB24_46
.LBB24_38:                              ;   Parent Loop BB24_12 Depth=1
                                        ; =>  This Loop Header: Depth=2
                                        ;       Child Loop BB24_41 Depth 3
                                        ;         Child Loop BB24_45 Depth 4
	s_and_saveexec_b32 s41, s0
	s_cbranch_execz .LBB24_37
; %bb.39:                               ;   in Loop: Header=BB24_38 Depth=2
	s_mul_i32 s42, s7, 0x110
	s_lshl_b32 s6, s7, 4
	s_mov_b32 s43, 0
	s_add_co_i32 s6, s42, s6
	s_addk_co_i32 s42, 0x1100
	v_mov_b32_e32 v2, s6
	ds_load_b128 v[2:5], v2
	s_wait_dscnt 0x0
	v_mul_f64_e32 v[6:7], v[4:5], v[4:5]
	s_delay_alu instid0(VALU_DEP_1) | instskip(NEXT) | instid1(VALU_DEP_1)
	v_fmac_f64_e32 v[6:7], v[2:3], v[2:3]
	v_div_scale_f64 v[8:9], null, v[6:7], v[6:7], 1.0
	s_delay_alu instid0(VALU_DEP_1) | instskip(SKIP_1) | instid1(TRANS32_DEP_1)
	v_rcp_f64_e32 v[16:17], v[8:9]
	v_nop
	v_fma_f64 v[30:31], -v[8:9], v[16:17], 1.0
	s_delay_alu instid0(VALU_DEP_1) | instskip(NEXT) | instid1(VALU_DEP_1)
	v_fmac_f64_e32 v[16:17], v[16:17], v[30:31]
	v_fma_f64 v[30:31], -v[8:9], v[16:17], 1.0
	s_delay_alu instid0(VALU_DEP_1) | instskip(SKIP_1) | instid1(VALU_DEP_1)
	v_fmac_f64_e32 v[16:17], v[16:17], v[30:31]
	v_div_scale_f64 v[30:31], vcc_lo, 1.0, v[6:7], 1.0
	v_mul_f64_e32 v[32:33], v[30:31], v[16:17]
	s_delay_alu instid0(VALU_DEP_1) | instskip(SKIP_1) | instid1(VALU_DEP_2)
	v_fma_f64 v[8:9], -v[8:9], v[32:33], v[30:31]
	v_dual_mov_b32 v31, v29 :: v_dual_add_nc_u32 v30, s7, v20
	v_div_fmas_f64 v[8:9], v[8:9], v[16:17], v[32:33]
	v_mov_b32_e32 v32, v19
	s_delay_alu instid0(VALU_DEP_3) | instskip(NEXT) | instid1(VALU_DEP_3)
	v_cmp_gt_i32_e32 vcc_lo, s25, v30
	v_div_fixup_f64 v[16:17], v[8:9], v[6:7], 1.0
	s_branch .LBB24_41
.LBB24_40:                              ;   in Loop: Header=BB24_41 Depth=3
	s_or_b32 exec_lo, exec_lo, s44
	v_add_nc_u32_e32 v32, 16, v32
	v_add_nc_u32_e32 v31, 0x100, v31
	s_delay_alu instid0(VALU_DEP_2) | instskip(SKIP_1) | instid1(SALU_CYCLE_1)
	v_cmp_le_i32_e64 s6, s25, v32
	s_or_b32 s43, s6, s43
	s_and_not1_b32 exec_lo, exec_lo, s43
	s_cbranch_execz .LBB24_37
.LBB24_41:                              ;   Parent Loop BB24_12 Depth=1
                                        ;     Parent Loop BB24_38 Depth=2
                                        ; =>    This Loop Header: Depth=3
                                        ;         Child Loop BB24_45 Depth 4
	s_delay_alu instid0(VALU_DEP_3) | instskip(SKIP_4) | instid1(VALU_DEP_2)
	v_lshl_add_u32 v33, v32, 4, s42
	ds_load_b128 v[6:9], v33
	s_wait_dscnt 0x0
	v_mul_f64_e32 v[34:35], v[4:5], v[8:9]
	v_mul_f64_e64 v[36:37], v[4:5], -v[6:7]
	v_fmac_f64_e32 v[34:35], v[6:7], v[2:3]
	s_delay_alu instid0(VALU_DEP_2) | instskip(NEXT) | instid1(VALU_DEP_2)
	v_fmac_f64_e32 v[36:37], v[8:9], v[2:3]
	v_mul_f64_e32 v[6:7], v[16:17], v[34:35]
	s_delay_alu instid0(VALU_DEP_2)
	v_mul_f64_e32 v[8:9], v[16:17], v[36:37]
	s_and_saveexec_b32 s6, s3
; %bb.42:                               ;   in Loop: Header=BB24_41 Depth=3
	ds_store_b128 v33, v[6:9]
; %bb.43:                               ;   in Loop: Header=BB24_41 Depth=3
	s_or_b32 exec_lo, exec_lo, s6
	s_and_saveexec_b32 s44, vcc_lo
	s_cbranch_execz .LBB24_40
; %bb.44:                               ;   in Loop: Header=BB24_41 Depth=3
	v_dual_mov_b32 v33, v28 :: v_dual_mov_b32 v34, v31
	v_mov_b32_e32 v35, v30
	s_mov_b32 s45, 0
.LBB24_45:                              ;   Parent Loop BB24_12 Depth=1
                                        ;     Parent Loop BB24_38 Depth=2
                                        ;       Parent Loop BB24_41 Depth=3
                                        ; =>      This Inner Loop Header: Depth=4
	ds_load_b128 v[36:39], v33
	ds_load_b128 v[40:43], v34
	v_add_nc_u32_e32 v33, 0x440, v33
	v_add_nc_u32_e32 v35, 4, v35
	s_delay_alu instid0(VALU_DEP_1) | instskip(SKIP_4) | instid1(VALU_DEP_2)
	v_cmp_le_i32_e64 s6, s25, v35
	s_or_b32 s45, s6, s45
	s_wait_dscnt 0x0
	v_fma_f64 v[40:41], -v[6:7], v[36:37], v[40:41]
	v_fma_f64 v[36:37], -v[8:9], v[36:37], v[42:43]
	v_fmac_f64_e32 v[40:41], v[8:9], v[38:39]
	s_delay_alu instid0(VALU_DEP_2)
	v_fma_f64 v[42:43], -v[6:7], v[38:39], v[36:37]
	ds_store_b128 v34, v[40:43]
	v_add_nc_u32_e32 v34, 0x440, v34
	s_and_not1_b32 exec_lo, exec_lo, s45
	s_cbranch_execnz .LBB24_45
	s_branch .LBB24_40
.LBB24_46:                              ;   in Loop: Header=BB24_12 Depth=1
	s_and_saveexec_b32 s6, s0
	s_cbranch_execz .LBB24_56
; %bb.47:                               ;   in Loop: Header=BB24_12 Depth=1
	v_dual_mov_b32 v2, v13 :: v_dual_mov_b32 v3, v23
	v_mov_b32_e32 v4, v19
	s_mul_i32 s7, s34, s25
	s_mov_b32 s41, 0
	s_branch .LBB24_49
.LBB24_48:                              ;   in Loop: Header=BB24_49 Depth=2
	s_or_b32 exec_lo, exec_lo, s42
	v_dual_add_nc_u32 v4, 16, v4 :: v_dual_add_nc_u32 v3, s38, v3
	v_add_nc_u32_e32 v2, 0x100, v2
	s_delay_alu instid0(VALU_DEP_2) | instskip(SKIP_1) | instid1(SALU_CYCLE_1)
	v_cmp_le_i32_e32 vcc_lo, s25, v4
	s_or_b32 s41, vcc_lo, s41
	s_and_not1_b32 exec_lo, exec_lo, s41
	s_cbranch_execz .LBB24_56
.LBB24_49:                              ;   Parent Loop BB24_12 Depth=1
                                        ; =>  This Loop Header: Depth=2
                                        ;       Child Loop BB24_52 Depth 3
	s_and_saveexec_b32 s42, s2
	s_cbranch_execz .LBB24_48
; %bb.50:                               ;   in Loop: Header=BB24_49 Depth=2
	v_dual_mov_b32 v5, v2 :: v_dual_mov_b32 v6, v18
	s_mov_b32 s43, 0
	s_branch .LBB24_52
.LBB24_51:                              ;   in Loop: Header=BB24_52 Depth=3
	ds_load_2addr_b64 v[28:31], v5 offset1:1
	v_add_nc_u32_e32 v6, 4, v6
	v_add_nc_u32_e32 v5, 0x440, v5
	s_delay_alu instid0(VALU_DEP_2)
	v_cmp_le_i32_e32 vcc_lo, s25, v6
	s_or_b32 s43, vcc_lo, s43
	s_wait_dscnt 0x0
	global_store_b128 v7, v[28:31], s[12:13] scale_offset
	s_wait_xcnt 0x0
	s_and_not1_b32 exec_lo, exec_lo, s43
	s_cbranch_execz .LBB24_48
.LBB24_52:                              ;   Parent Loop BB24_12 Depth=1
                                        ;     Parent Loop BB24_49 Depth=2
                                        ; =>    This Inner Loop Header: Depth=3
	s_and_b32 vcc_lo, exec_lo, s35
	s_cbranch_vccz .LBB24_54
; %bb.53:                               ;   in Loop: Header=BB24_52 Depth=3
	v_add_nc_u32_e32 v7, s7, v6
	s_delay_alu instid0(VALU_DEP_1)
	v_mad_u32 v7, v7, s25, v4
	s_cbranch_execnz .LBB24_51
	s_branch .LBB24_55
.LBB24_54:                              ;   in Loop: Header=BB24_52 Depth=3
                                        ; implicit-def: $vgpr7
.LBB24_55:                              ;   in Loop: Header=BB24_52 Depth=3
	v_add_nc_u32_e32 v7, v3, v6
	s_branch .LBB24_51
.LBB24_56:                              ;   in Loop: Header=BB24_12 Depth=1
	s_or_b32 exec_lo, exec_lo, s6
	s_sub_co_i32 s6, s40, s24
	s_add_co_i32 s7, s39, 1
	s_delay_alu instid0(SALU_CYCLE_1)
	s_cmp_ge_i32 s7, s6
	s_cbranch_scc1 .LBB24_11
; %bb.57:                               ;   in Loop: Header=BB24_12 Depth=1
	v_mad_u32 v2, s25, s7, v19
	s_delay_alu instid0(VALU_DEP_1)
	v_mul_lo_u32 v6, s25, v2
	s_branch .LBB24_61
.LBB24_58:                              ;   in Loop: Header=BB24_61 Depth=2
	s_or_b32 exec_lo, exec_lo, s40
.LBB24_59:                              ;   in Loop: Header=BB24_61 Depth=2
	s_delay_alu instid0(SALU_CYCLE_1)
	s_or_b32 exec_lo, exec_lo, s39
.LBB24_60:                              ;   in Loop: Header=BB24_61 Depth=2
	v_add_nc_u32_e32 v6, s37, v6
	s_add_co_i32 s7, s7, 1
	s_wait_storecnt_dscnt 0x0
	s_cmp_lt_i32 s7, s6
	s_cbranch_scc0 .LBB24_11
.LBB24_61:                              ;   Parent Loop BB24_12 Depth=1
                                        ; =>  This Loop Header: Depth=2
                                        ;       Child Loop BB24_66 Depth 3
                                        ;       Child Loop BB24_75 Depth 3
                                        ;         Child Loop BB24_78 Depth 4
                                        ;       Child Loop BB24_84 Depth 3
                                        ;         Child Loop BB24_87 Depth 4
                                        ;           Child Loop BB24_88 Depth 5
	v_dual_mov_b32 v2, s7 :: v_dual_mov_b32 v3, s29
	global_load_b32 v2, v2, s[10:11] scale_offset
	s_wait_xcnt 0x0
	s_and_saveexec_b32 s39, s4
	s_cbranch_execz .LBB24_63
; %bb.62:                               ;   in Loop: Header=BB24_61 Depth=2
	global_load_b32 v3, v[14:15], off
	s_wait_loadcnt 0x0
	v_subrev_nc_u32_e32 v3, s24, v3
.LBB24_63:                              ;   in Loop: Header=BB24_61 Depth=2
	s_wait_xcnt 0x0
	s_or_b32 exec_lo, exec_lo, s39
	s_wait_loadcnt 0x0
	v_subrev_nc_u32_e32 v2, s24, v2
	v_mov_b32_e32 v4, v12
	s_mov_b32 s39, exec_lo
	s_delay_alu instid0(VALU_DEP_2)
	v_cmpx_lt_i32_e64 v3, v2
	s_cbranch_execz .LBB24_69
; %bb.64:                               ;   in Loop: Header=BB24_61 Depth=2
	v_mov_b32_e32 v5, v12
	s_mov_b32 s40, 0
	s_branch .LBB24_66
.LBB24_65:                              ;   in Loop: Header=BB24_66 Depth=3
	s_wait_xcnt 0x0
	s_or_b32 exec_lo, exec_lo, s41
	s_delay_alu instid0(VALU_DEP_1) | instskip(SKIP_2) | instid1(SALU_CYCLE_1)
	v_cmp_ge_i32_e32 vcc_lo, v3, v2
	v_mov_b32_e32 v5, v4
	s_or_b32 s40, vcc_lo, s40
	s_and_not1_b32 exec_lo, exec_lo, s40
	s_cbranch_execz .LBB24_68
.LBB24_66:                              ;   Parent Loop BB24_12 Depth=1
                                        ;     Parent Loop BB24_61 Depth=2
                                        ; =>    This Inner Loop Header: Depth=3
	s_delay_alu instid0(VALU_DEP_1) | instskip(SKIP_1) | instid1(VALU_DEP_1)
	v_dual_mov_b32 v3, s29 :: v_dual_add_nc_u32 v4, 64, v5
	s_mov_b32 s41, exec_lo
	v_cmpx_gt_i32_e64 s27, v4
	s_cbranch_execz .LBB24_65
; %bb.67:                               ;   in Loop: Header=BB24_66 Depth=3
	global_load_b32 v3, v5, s[10:11] offset:256 scale_offset
	s_wait_loadcnt 0x0
	v_subrev_nc_u32_e32 v3, s24, v3
	s_branch .LBB24_65
.LBB24_68:                              ;   in Loop: Header=BB24_61 Depth=2
	s_or_b32 exec_lo, exec_lo, s40
.LBB24_69:                              ;   in Loop: Header=BB24_61 Depth=2
	s_delay_alu instid0(SALU_CYCLE_1)
	s_or_b32 exec_lo, exec_lo, s39
	v_cmp_eq_u32_e32 vcc_lo, v3, v2
	s_cbranch_vccz .LBB24_60
; %bb.70:                               ;   in Loop: Header=BB24_61 Depth=2
	s_ctz_i32_b32 s39, vcc_lo
	s_delay_alu instid0(SALU_CYCLE_1) | instskip(NEXT) | instid1(SALU_CYCLE_1)
	s_lshl_b32 s39, s39, 2
	v_mov_b32_e32 v2, s39
	ds_bpermute_b32 v2, v2, v4
	s_and_saveexec_b32 s39, s1
	s_delay_alu instid0(SALU_CYCLE_1)
	s_xor_b32 s39, exec_lo, s39
	s_cbranch_execz .LBB24_72
; %bb.71:                               ;   in Loop: Header=BB24_61 Depth=2
                                        ; implicit-def: $vgpr2
	s_wait_storecnt_dscnt 0x0
.LBB24_72:                              ;   in Loop: Header=BB24_61 Depth=2
	s_and_not1_saveexec_b32 s39, s39
	s_cbranch_execz .LBB24_59
; %bb.73:                               ;   in Loop: Header=BB24_61 Depth=2
	v_dual_mov_b32 v3, v21 :: v_dual_mov_b32 v4, v6
	v_mov_b32_e32 v5, v19
	s_mul_i32 s41, s7, s25
	s_mov_b32 s40, 0
	s_branch .LBB24_75
.LBB24_74:                              ;   in Loop: Header=BB24_75 Depth=3
	s_or_b32 exec_lo, exec_lo, s42
	v_dual_add_nc_u32 v5, 16, v5 :: v_dual_add_nc_u32 v4, s38, v4
	v_add_nc_u32_e32 v3, 0x100, v3
	s_delay_alu instid0(VALU_DEP_2) | instskip(SKIP_1) | instid1(SALU_CYCLE_1)
	v_cmp_le_i32_e32 vcc_lo, s25, v5
	s_or_b32 s40, vcc_lo, s40
	s_and_not1_b32 exec_lo, exec_lo, s40
	s_cbranch_execz .LBB24_82
.LBB24_75:                              ;   Parent Loop BB24_12 Depth=1
                                        ;     Parent Loop BB24_61 Depth=2
                                        ; =>    This Loop Header: Depth=3
                                        ;         Child Loop BB24_78 Depth 4
	s_and_saveexec_b32 s42, s2
	s_cbranch_execz .LBB24_74
; %bb.76:                               ;   in Loop: Header=BB24_75 Depth=3
	v_dual_mov_b32 v7, v3 :: v_dual_mov_b32 v8, v18
	s_mov_b32 s43, 0
	s_branch .LBB24_78
.LBB24_77:                              ;   in Loop: Header=BB24_78 Depth=4
	global_load_b128 v[28:31], v9, s[12:13] scale_offset
	v_add_nc_u32_e32 v8, 4, v8
	s_delay_alu instid0(VALU_DEP_1)
	v_cmp_le_i32_e32 vcc_lo, s25, v8
	s_or_b32 s43, vcc_lo, s43
	s_wait_loadcnt 0x0
	ds_store_2addr_b64 v7, v[28:29], v[30:31] offset1:1
	v_add_nc_u32_e32 v7, 0x440, v7
	s_wait_xcnt 0x0
	s_and_not1_b32 exec_lo, exec_lo, s43
	s_cbranch_execz .LBB24_74
.LBB24_78:                              ;   Parent Loop BB24_12 Depth=1
                                        ;     Parent Loop BB24_61 Depth=2
                                        ;       Parent Loop BB24_75 Depth=3
                                        ; =>      This Inner Loop Header: Depth=4
	s_and_b32 vcc_lo, exec_lo, s35
	s_cbranch_vccz .LBB24_80
; %bb.79:                               ;   in Loop: Header=BB24_78 Depth=4
	v_add_nc_u32_e32 v9, s41, v8
	s_delay_alu instid0(VALU_DEP_1)
	v_mad_u32 v9, v9, s25, v5
	s_cbranch_execnz .LBB24_77
	s_branch .LBB24_81
.LBB24_80:                              ;   in Loop: Header=BB24_78 Depth=4
                                        ; implicit-def: $vgpr9
.LBB24_81:                              ;   in Loop: Header=BB24_78 Depth=4
	v_add_nc_u32_e32 v9, v4, v8
	s_branch .LBB24_77
.LBB24_82:                              ;   in Loop: Header=BB24_61 Depth=2
	s_or_b32 exec_lo, exec_lo, s40
	s_wait_dscnt 0x0
	v_mul_lo_u32 v7, v2, s25
	v_dual_mov_b32 v8, v26 :: v_dual_mov_b32 v9, v19
	s_mov_b32 s40, 0
	s_wait_storecnt 0x0
	s_branch .LBB24_84
.LBB24_83:                              ;   in Loop: Header=BB24_84 Depth=3
	s_or_b32 exec_lo, exec_lo, s41
	v_add_nc_u32_e32 v9, 16, v9
	v_add_nc_u32_e32 v8, 0x100, v8
	s_delay_alu instid0(VALU_DEP_2) | instskip(SKIP_1) | instid1(SALU_CYCLE_1)
	v_cmp_le_i32_e32 vcc_lo, s25, v9
	s_or_b32 s40, vcc_lo, s40
	s_and_not1_b32 exec_lo, exec_lo, s40
	s_cbranch_execz .LBB24_58
.LBB24_84:                              ;   Parent Loop BB24_12 Depth=1
                                        ;     Parent Loop BB24_61 Depth=2
                                        ; =>    This Loop Header: Depth=3
                                        ;         Child Loop BB24_87 Depth 4
                                        ;           Child Loop BB24_88 Depth 5
	s_and_saveexec_b32 s41, s2
	s_cbranch_execz .LBB24_83
; %bb.85:                               ;   in Loop: Header=BB24_84 Depth=3
	s_delay_alu instid0(VALU_DEP_2) | instskip(SKIP_2) | instid1(VALU_DEP_2)
	v_dual_mov_b32 v17, v22 :: v_dual_add_nc_u32 v2, v9, v7
	v_mov_b32_e32 v28, v18
	s_mov_b32 s42, 0
	v_mul_lo_u32 v16, v2, s25
	s_branch .LBB24_87
.LBB24_86:                              ;   in Loop: Header=BB24_87 Depth=4
	global_load_b128 v[30:33], v29, s[12:13] scale_offset
	v_add_nc_u32_e32 v17, 0x440, v17
	v_add_nc_u32_e32 v28, 4, v28
	s_delay_alu instid0(VALU_DEP_1)
	v_cmp_le_i32_e32 vcc_lo, s25, v28
	s_or_b32 s42, vcc_lo, s42
	s_wait_loadcnt 0x0
	v_add_f64_e64 v[2:3], v[30:31], -v[2:3]
	v_add_f64_e64 v[4:5], v[32:33], -v[4:5]
	global_store_b128 v29, v[2:5], s[12:13] scale_offset
	s_wait_xcnt 0x0
	s_and_not1_b32 exec_lo, exec_lo, s42
	s_cbranch_execz .LBB24_83
.LBB24_87:                              ;   Parent Loop BB24_12 Depth=1
                                        ;     Parent Loop BB24_61 Depth=2
                                        ;       Parent Loop BB24_84 Depth=3
                                        ; =>      This Loop Header: Depth=4
                                        ;           Child Loop BB24_88 Depth 5
	v_mov_b64_e32 v[2:3], 0
	v_mov_b64_e32 v[4:5], 0
	v_dual_mov_b32 v29, v8 :: v_dual_mov_b32 v30, v17
	s_mov_b32 s43, s25
.LBB24_88:                              ;   Parent Loop BB24_12 Depth=1
                                        ;     Parent Loop BB24_61 Depth=2
                                        ;       Parent Loop BB24_84 Depth=3
                                        ;         Parent Loop BB24_87 Depth=4
                                        ; =>        This Inner Loop Header: Depth=5
	ds_load_b128 v[32:35], v29
	ds_load_b128 v[36:39], v30
	v_add_nc_u32_e32 v30, 16, v30
	v_add_nc_u32_e32 v29, 0x110, v29
	s_add_co_i32 s43, s43, -1
	s_delay_alu instid0(SALU_CYCLE_1) | instskip(SKIP_3) | instid1(VALU_DEP_2)
	s_cmp_eq_u32 s43, 0
	s_wait_dscnt 0x0
	v_fmac_f64_e32 v[2:3], v[32:33], v[36:37]
	v_fmac_f64_e32 v[4:5], v[34:35], v[36:37]
	v_fma_f64 v[2:3], -v[34:35], v[38:39], v[2:3]
	s_delay_alu instid0(VALU_DEP_2)
	v_fmac_f64_e32 v[4:5], v[32:33], v[38:39]
	s_cbranch_scc0 .LBB24_88
; %bb.89:                               ;   in Loop: Header=BB24_87 Depth=4
	s_and_b32 vcc_lo, exec_lo, s35
	s_cbranch_vccz .LBB24_91
; %bb.90:                               ;   in Loop: Header=BB24_87 Depth=4
	v_add_nc_u32_e32 v29, v28, v7
	s_delay_alu instid0(VALU_DEP_1)
	v_mad_u32 v29, v29, s25, v9
	s_cbranch_execnz .LBB24_86
	s_branch .LBB24_92
.LBB24_91:                              ;   in Loop: Header=BB24_87 Depth=4
                                        ; implicit-def: $vgpr29
.LBB24_92:                              ;   in Loop: Header=BB24_87 Depth=4
	v_add_nc_u32_e32 v29, v28, v16
	s_branch .LBB24_86
.LBB24_93:
	s_wait_xcnt 0x0
	v_mov_b32_e32 v2, s30
	global_load_b32 v2, v2, s[10:11] scale_offset
	s_wait_loadcnt 0x0
	v_subrev_nc_u32_e32 v2, s24, v2
	s_delay_alu instid0(VALU_DEP_1)
	v_cmp_ne_u32_e32 vcc_lo, s26, v2
	s_cbranch_vccnz .LBB24_105
; %bb.94:
	v_and_b32_e32 v14, 0x3ff, v0
	s_delay_alu instid0(VALU_DEP_1)
	v_cmp_gt_i32_e64 s0, s25, v14
	v_lshlrev_b32_e32 v15, 4, v14
	s_and_saveexec_b32 s2, s0
	s_cbranch_execz .LBB24_106
; %bb.95:
	s_mul_i32 s3, s30, s25
	v_bfe_u32 v2, v0, 10, 10
	v_dual_add_nc_u32 v3, s3, v14 :: v_dual_mov_b32 v5, v14
	s_cmp_lg_u32 s28, 0
	s_mov_b32 s4, 0
	s_delay_alu instid0(VALU_DEP_2) | instskip(NEXT) | instid1(VALU_DEP_2)
	v_cmp_gt_u32_e64 s1, s25, v2
	v_mul_lo_u32 v3, s25, v3
	v_mad_u32_u24 v4, 0x110, v2, v15
	s_cselect_b32 s5, -1, 0
	s_lshl_b32 s6, s25, 4
	s_branch .LBB24_97
.LBB24_96:                              ;   in Loop: Header=BB24_97 Depth=1
	s_or_b32 exec_lo, exec_lo, s7
	s_delay_alu instid0(VALU_DEP_2) | instskip(SKIP_1) | instid1(VALU_DEP_2)
	v_dual_add_nc_u32 v5, 16, v5 :: v_dual_add_nc_u32 v3, s6, v3
	v_add_nc_u32_e32 v4, 0x100, v4
	v_cmp_le_i32_e32 vcc_lo, s25, v5
	s_or_b32 s4, vcc_lo, s4
	s_delay_alu instid0(SALU_CYCLE_1)
	s_and_not1_b32 exec_lo, exec_lo, s4
	s_cbranch_execz .LBB24_106
.LBB24_97:                              ; =>This Loop Header: Depth=1
                                        ;     Child Loop BB24_100 Depth 2
	s_and_saveexec_b32 s7, s1
	s_cbranch_execz .LBB24_96
; %bb.98:                               ;   in Loop: Header=BB24_97 Depth=1
	v_dual_mov_b32 v6, v4 :: v_dual_mov_b32 v7, v2
	s_mov_b32 s8, 0
	s_branch .LBB24_100
.LBB24_99:                              ;   in Loop: Header=BB24_100 Depth=2
	global_load_b128 v[16:19], v8, s[12:13] scale_offset
	v_add_nc_u32_e32 v7, 4, v7
	s_delay_alu instid0(VALU_DEP_1)
	v_cmp_le_i32_e32 vcc_lo, s25, v7
	s_or_b32 s8, vcc_lo, s8
	s_wait_loadcnt 0x0
	ds_store_2addr_b64 v6, v[16:17], v[18:19] offset1:1
	v_add_nc_u32_e32 v6, 0x440, v6
	s_wait_xcnt 0x0
	s_and_not1_b32 exec_lo, exec_lo, s8
	s_cbranch_execz .LBB24_96
.LBB24_100:                             ;   Parent Loop BB24_97 Depth=1
                                        ; =>  This Inner Loop Header: Depth=2
	s_and_b32 vcc_lo, exec_lo, s5
	s_cbranch_vccz .LBB24_102
; %bb.101:                              ;   in Loop: Header=BB24_100 Depth=2
	v_add_nc_u32_e32 v8, s3, v7
	s_delay_alu instid0(VALU_DEP_1)
	v_mad_u32 v8, v8, s25, v5
	s_cbranch_execnz .LBB24_99
	s_branch .LBB24_103
.LBB24_102:                             ;   in Loop: Header=BB24_100 Depth=2
                                        ; implicit-def: $vgpr8
.LBB24_103:                             ;   in Loop: Header=BB24_100 Depth=2
	v_add_nc_u32_e32 v8, v3, v7
	s_branch .LBB24_99
.LBB24_104:
	s_mov_b32 s4, -1
	s_branch .LBB24_196
.LBB24_105:
	s_mov_b32 s4, s31
	s_add_co_i32 s5, s30, 1
	s_delay_alu instid0(SALU_CYCLE_1)
	s_cmp_ge_i32 s5, s27
	s_cbranch_scc0 .LBB24_145
	s_branch .LBB24_196
.LBB24_106:
	s_or_b32 exec_lo, exec_lo, s2
	s_cmp_lt_i32 s25, 1
	s_wait_storecnt_dscnt 0x0
	s_cbranch_scc1 .LBB24_134
; %bb.107:
	v_cvt_f64_f32_e32 v[2:3], s33
	v_bfe_u32 v16, v0, 10, 10
	s_cmp_eq_u64 s[16:17], 8
	v_mov_b32_e32 v19, 0
	s_cselect_b32 vcc_lo, -1, 0
	s_delay_alu instid0(VALU_DEP_2)
	v_dual_mov_b32 v20, 0 :: v_dual_bitop2_b32 v4, v14, v16 bitop3:0x54
	v_mul_u32_u24_e32 v5, 0x110, v16
	v_cmp_eq_u32_e64 s1, 0, v16
	v_mad_u32_u24 v17, 0x110, v16, 0x110
	s_mov_b32 s5, 0
	v_cmp_eq_u32_e64 s2, 0, v4
	v_add3_u32 v18, v5, v15, 0x120
                                        ; implicit-def: $sgpr4
	v_dual_cndmask_b32 v7, v3, v11 :: v_dual_cndmask_b32 v6, v2, v10
	s_branch .LBB24_109
.LBB24_108:                             ;   in Loop: Header=BB24_109 Depth=1
	s_or_b32 exec_lo, exec_lo, s3
	s_delay_alu instid0(VALU_DEP_1)
	v_cmp_eq_u32_e32 vcc_lo, s25, v8
	v_add_nc_u32_e32 v18, 0x120, v18
	v_dual_mov_b32 v20, v8 :: v_dual_add_nc_u32 v17, 0x120, v17
	s_or_b32 s5, vcc_lo, s5
	s_and_not1_b32 s3, s4, exec_lo
	s_and_b32 s4, s31, exec_lo
	s_delay_alu instid0(SALU_CYCLE_1)
	s_or_b32 s4, s3, s4
	s_and_not1_b32 exec_lo, exec_lo, s5
	s_cbranch_execz .LBB24_133
.LBB24_109:                             ; =>This Loop Header: Depth=1
                                        ;     Child Loop BB24_126 Depth 2
                                        ;       Child Loop BB24_130 Depth 3
	v_mul_lo_u32 v21, 0x110, v20
	v_cmp_ne_u32_e32 vcc_lo, 1, v1
	s_mov_b32 s3, -1
	s_mov_b32 s7, 0
	s_and_b32 vcc_lo, exec_lo, vcc_lo
	s_delay_alu instid0(VALU_DEP_2)
	v_lshl_add_u32 v22, v20, 4, v21
	ds_load_2addr_b64 v[2:5], v22 offset1:1
	s_wait_dscnt 0x0
	scratch_store_b128 off, v[2:5], off offset:16
	s_cbranch_vccz .LBB24_113
; %bb.110:                              ;   in Loop: Header=BB24_109 Depth=1
	s_and_b32 vcc_lo, exec_lo, s3
	s_mov_b32 s6, 0
	s_cbranch_vccnz .LBB24_122
.LBB24_111:                             ;   in Loop: Header=BB24_109 Depth=1
                                        ; implicit-def: $vgpr8
	s_wait_xcnt 0x0
	s_and_saveexec_b32 s3, s7
	s_delay_alu instid0(SALU_CYCLE_1)
	s_xor_b32 s7, exec_lo, s3
	s_cbranch_execnz .LBB24_123
.LBB24_112:                             ;   in Loop: Header=BB24_109 Depth=1
	s_or_b32 exec_lo, exec_lo, s7
	s_and_saveexec_b32 s3, s6
	s_cbranch_execz .LBB24_108
	s_branch .LBB24_132
.LBB24_113:                             ;   in Loop: Header=BB24_109 Depth=1
	v_cmp_gt_f64_e32 vcc_lo, 0, v[2:3]
	v_xor_b32_e32 v9, 0x80000000, v3
	v_mov_b32_e32 v8, v2
	v_xor_b32_e32 v10, 0x80000000, v5
	s_mov_b32 s3, exec_lo
                                        ; implicit-def: $vgpr12_vgpr13
	s_delay_alu instid0(VALU_DEP_3) | instskip(SKIP_1) | instid1(VALU_DEP_3)
	v_cndmask_b32_e32 v9, v3, v9, vcc_lo
	v_cmp_gt_f64_e32 vcc_lo, 0, v[4:5]
	v_dual_cndmask_b32 v11, v5, v10 :: v_dual_mov_b32 v10, v4
	s_wait_xcnt 0x0
	s_delay_alu instid0(VALU_DEP_1)
	v_cmpx_ngt_f64_e32 v[8:9], v[10:11]
	s_xor_b32 s3, exec_lo, s3
	s_cbranch_execz .LBB24_117
; %bb.114:                              ;   in Loop: Header=BB24_109 Depth=1
	v_mov_b64_e32 v[12:13], 0
	s_mov_b32 s6, exec_lo
	v_cmpx_neq_f64_e32 0, v[4:5]
	s_cbranch_execz .LBB24_116
; %bb.115:                              ;   in Loop: Header=BB24_109 Depth=1
	v_div_scale_f64 v[12:13], null, v[10:11], v[10:11], v[8:9]
	v_div_scale_f64 v[28:29], vcc_lo, v[8:9], v[10:11], v[8:9]
	s_delay_alu instid0(VALU_DEP_2) | instskip(SKIP_1) | instid1(TRANS32_DEP_1)
	v_rcp_f64_e32 v[24:25], v[12:13]
	v_nop
	v_fma_f64 v[26:27], -v[12:13], v[24:25], 1.0
	s_delay_alu instid0(VALU_DEP_1) | instskip(NEXT) | instid1(VALU_DEP_1)
	v_fmac_f64_e32 v[24:25], v[24:25], v[26:27]
	v_fma_f64 v[26:27], -v[12:13], v[24:25], 1.0
	s_delay_alu instid0(VALU_DEP_1) | instskip(NEXT) | instid1(VALU_DEP_1)
	v_fmac_f64_e32 v[24:25], v[24:25], v[26:27]
	v_mul_f64_e32 v[26:27], v[28:29], v[24:25]
	s_delay_alu instid0(VALU_DEP_1) | instskip(NEXT) | instid1(VALU_DEP_1)
	v_fma_f64 v[12:13], -v[12:13], v[26:27], v[28:29]
	v_div_fmas_f64 v[12:13], v[12:13], v[24:25], v[26:27]
	s_delay_alu instid0(VALU_DEP_1) | instskip(NEXT) | instid1(VALU_DEP_1)
	v_div_fixup_f64 v[8:9], v[12:13], v[10:11], v[8:9]
	v_fma_f64 v[8:9], v[8:9], v[8:9], 1.0
	s_delay_alu instid0(VALU_DEP_1) | instskip(SKIP_1) | instid1(VALU_DEP_1)
	v_cmp_gt_f64_e32 vcc_lo, 0x10000000, v[8:9]
	v_cndmask_b32_e64 v12, 0, 0x100, vcc_lo
	v_ldexp_f64 v[8:9], v[8:9], v12
	s_delay_alu instid0(VALU_DEP_1) | instskip(SKIP_1) | instid1(TRANS32_DEP_1)
	v_rsq_f64_e32 v[12:13], v[8:9]
	v_nop
	v_mul_f64_e32 v[24:25], v[8:9], v[12:13]
	v_mul_f64_e32 v[12:13], 0.5, v[12:13]
	s_delay_alu instid0(VALU_DEP_1) | instskip(NEXT) | instid1(VALU_DEP_1)
	v_fma_f64 v[26:27], -v[12:13], v[24:25], 0.5
	v_fmac_f64_e32 v[24:25], v[24:25], v[26:27]
	v_fmac_f64_e32 v[12:13], v[12:13], v[26:27]
	s_delay_alu instid0(VALU_DEP_2) | instskip(NEXT) | instid1(VALU_DEP_1)
	v_fma_f64 v[26:27], -v[24:25], v[24:25], v[8:9]
	v_fmac_f64_e32 v[24:25], v[26:27], v[12:13]
	s_delay_alu instid0(VALU_DEP_1) | instskip(NEXT) | instid1(VALU_DEP_1)
	v_fma_f64 v[26:27], -v[24:25], v[24:25], v[8:9]
	v_fmac_f64_e32 v[24:25], v[26:27], v[12:13]
	v_cndmask_b32_e64 v12, 0, 0xffffff80, vcc_lo
	v_cmp_class_f64_e64 vcc_lo, v[8:9], 0x260
	s_delay_alu instid0(VALU_DEP_2) | instskip(NEXT) | instid1(VALU_DEP_1)
	v_ldexp_f64 v[12:13], v[24:25], v12
	v_dual_cndmask_b32 v9, v13, v9 :: v_dual_cndmask_b32 v8, v12, v8
	s_delay_alu instid0(VALU_DEP_1)
	v_mul_f64_e32 v[12:13], v[10:11], v[8:9]
.LBB24_116:                             ;   in Loop: Header=BB24_109 Depth=1
	s_or_b32 exec_lo, exec_lo, s6
                                        ; implicit-def: $vgpr8_vgpr9
                                        ; implicit-def: $vgpr10_vgpr11
.LBB24_117:                             ;   in Loop: Header=BB24_109 Depth=1
	s_and_not1_saveexec_b32 s3, s3
	s_cbranch_execz .LBB24_119
; %bb.118:                              ;   in Loop: Header=BB24_109 Depth=1
	v_div_scale_f64 v[12:13], null, v[8:9], v[8:9], v[10:11]
	v_div_scale_f64 v[28:29], vcc_lo, v[10:11], v[8:9], v[10:11]
	s_delay_alu instid0(VALU_DEP_2) | instskip(SKIP_1) | instid1(TRANS32_DEP_1)
	v_rcp_f64_e32 v[24:25], v[12:13]
	v_nop
	v_fma_f64 v[26:27], -v[12:13], v[24:25], 1.0
	s_delay_alu instid0(VALU_DEP_1) | instskip(NEXT) | instid1(VALU_DEP_1)
	v_fmac_f64_e32 v[24:25], v[24:25], v[26:27]
	v_fma_f64 v[26:27], -v[12:13], v[24:25], 1.0
	s_delay_alu instid0(VALU_DEP_1) | instskip(NEXT) | instid1(VALU_DEP_1)
	v_fmac_f64_e32 v[24:25], v[24:25], v[26:27]
	v_mul_f64_e32 v[26:27], v[28:29], v[24:25]
	s_delay_alu instid0(VALU_DEP_1) | instskip(NEXT) | instid1(VALU_DEP_1)
	v_fma_f64 v[12:13], -v[12:13], v[26:27], v[28:29]
	v_div_fmas_f64 v[12:13], v[12:13], v[24:25], v[26:27]
	s_delay_alu instid0(VALU_DEP_1) | instskip(NEXT) | instid1(VALU_DEP_1)
	v_div_fixup_f64 v[10:11], v[12:13], v[8:9], v[10:11]
	v_fma_f64 v[10:11], v[10:11], v[10:11], 1.0
	s_delay_alu instid0(VALU_DEP_1) | instskip(SKIP_1) | instid1(VALU_DEP_1)
	v_cmp_gt_f64_e32 vcc_lo, 0x10000000, v[10:11]
	v_cndmask_b32_e64 v12, 0, 0x100, vcc_lo
	v_ldexp_f64 v[10:11], v[10:11], v12
	s_delay_alu instid0(VALU_DEP_1) | instskip(SKIP_1) | instid1(TRANS32_DEP_1)
	v_rsq_f64_e32 v[12:13], v[10:11]
	v_nop
	v_mul_f64_e32 v[24:25], v[10:11], v[12:13]
	v_mul_f64_e32 v[12:13], 0.5, v[12:13]
	s_delay_alu instid0(VALU_DEP_1) | instskip(NEXT) | instid1(VALU_DEP_1)
	v_fma_f64 v[26:27], -v[12:13], v[24:25], 0.5
	v_fmac_f64_e32 v[24:25], v[24:25], v[26:27]
	v_fmac_f64_e32 v[12:13], v[12:13], v[26:27]
	s_delay_alu instid0(VALU_DEP_2) | instskip(NEXT) | instid1(VALU_DEP_1)
	v_fma_f64 v[26:27], -v[24:25], v[24:25], v[10:11]
	v_fmac_f64_e32 v[24:25], v[26:27], v[12:13]
	s_delay_alu instid0(VALU_DEP_1) | instskip(NEXT) | instid1(VALU_DEP_1)
	v_fma_f64 v[26:27], -v[24:25], v[24:25], v[10:11]
	v_fmac_f64_e32 v[24:25], v[26:27], v[12:13]
	v_cndmask_b32_e64 v12, 0, 0xffffff80, vcc_lo
	v_cmp_class_f64_e64 vcc_lo, v[10:11], 0x260
	s_delay_alu instid0(VALU_DEP_2) | instskip(NEXT) | instid1(VALU_DEP_1)
	v_ldexp_f64 v[12:13], v[24:25], v12
	v_dual_cndmask_b32 v11, v13, v11 :: v_dual_cndmask_b32 v10, v12, v10
	s_delay_alu instid0(VALU_DEP_1)
	v_mul_f64_e32 v[12:13], v[8:9], v[10:11]
.LBB24_119:                             ;   in Loop: Header=BB24_109 Depth=1
	s_or_b32 exec_lo, exec_lo, s3
	s_delay_alu instid0(VALU_DEP_1)
	v_cmp_ge_f64_e32 vcc_lo, v[6:7], v[12:13]
	v_cndmask_b32_e32 v8, 16, v19, vcc_lo
	scratch_load_b128 v[8:11], v8, off
	s_wait_loadcnt 0x0
	scratch_store_b128 off, v[8:11], off offset:16
	s_wait_storecnt 0x0
	s_wait_xcnt 0x0
	s_and_saveexec_b32 s3, s2
	s_cbranch_execz .LBB24_121
; %bb.120:                              ;   in Loop: Header=BB24_109 Depth=1
	scratch_load_b128 v[8:11], off, off offset:16
	s_wait_loadcnt 0x0
	ds_store_2addr_b64 v22, v[8:9], v[10:11] offset1:1
.LBB24_121:                             ;   in Loop: Header=BB24_109 Depth=1
	s_or_b32 exec_lo, exec_lo, s3
	s_mov_b32 s7, -1
	s_mov_b32 s6, 0
	s_branch .LBB24_111
.LBB24_122:                             ;   in Loop: Header=BB24_109 Depth=1
	v_cmp_neq_f64_e32 vcc_lo, 0, v[2:3]
	v_cmp_neq_f64_e64 s3, 0, v[4:5]
	s_and_not1_b32 s7, s7, exec_lo
	s_mov_b32 s6, -1
	s_or_b32 s3, vcc_lo, s3
	s_delay_alu instid0(SALU_CYCLE_1) | instskip(NEXT) | instid1(SALU_CYCLE_1)
	s_and_b32 s3, s3, exec_lo
	s_or_b32 s7, s7, s3
                                        ; implicit-def: $vgpr8
	s_wait_xcnt 0x0
	s_and_saveexec_b32 s3, s7
	s_delay_alu instid0(SALU_CYCLE_1)
	s_xor_b32 s7, exec_lo, s3
	s_cbranch_execz .LBB24_112
.LBB24_123:                             ;   in Loop: Header=BB24_109 Depth=1
	v_add_nc_u32_e32 v8, 1, v20
	s_mov_b32 s8, exec_lo
	s_delay_alu instid0(VALU_DEP_1) | instskip(NEXT) | instid1(VALU_DEP_1)
	v_add_nc_u32_e32 v9, v8, v14
	v_cmpx_gt_i32_e64 s25, v9
	s_cbranch_execz .LBB24_131
; %bb.124:                              ;   in Loop: Header=BB24_109 Depth=1
	v_dual_mov_b32 v11, v18 :: v_dual_add_nc_u32 v10, v8, v16
	s_mov_b32 s9, 0
	s_delay_alu instid0(VALU_DEP_1)
	v_cmp_gt_i32_e64 s3, s25, v10
	s_branch .LBB24_126
.LBB24_125:                             ;   in Loop: Header=BB24_126 Depth=2
	s_or_b32 exec_lo, exec_lo, s10
	v_add_nc_u32_e32 v9, 16, v9
	v_add_nc_u32_e32 v11, 0x100, v11
	s_delay_alu instid0(VALU_DEP_2) | instskip(SKIP_1) | instid1(SALU_CYCLE_1)
	v_cmp_le_i32_e32 vcc_lo, s25, v9
	s_or_b32 s9, vcc_lo, s9
	s_and_not1_b32 exec_lo, exec_lo, s9
	s_cbranch_execz .LBB24_131
.LBB24_126:                             ;   Parent Loop BB24_109 Depth=1
                                        ; =>  This Loop Header: Depth=2
                                        ;       Child Loop BB24_130 Depth 3
	scratch_load_b128 v[2:5], off, off offset:16
	s_wait_loadcnt 0x0
	v_mul_f64_e32 v[26:27], v[4:5], v[4:5]
	s_delay_alu instid0(VALU_DEP_1) | instskip(NEXT) | instid1(VALU_DEP_1)
	v_fmac_f64_e32 v[26:27], v[2:3], v[2:3]
	v_div_scale_f64 v[12:13], null, v[26:27], v[26:27], 1.0
	v_div_scale_f64 v[24:25], vcc_lo, 1.0, v[26:27], 1.0
	s_delay_alu instid0(VALU_DEP_2) | instskip(SKIP_1) | instid1(TRANS32_DEP_1)
	v_rcp_f64_e32 v[28:29], v[12:13]
	v_nop
	v_fma_f64 v[22:23], -v[12:13], v[28:29], 1.0
	s_delay_alu instid0(VALU_DEP_1) | instskip(NEXT) | instid1(VALU_DEP_1)
	v_fmac_f64_e32 v[28:29], v[28:29], v[22:23]
	v_fma_f64 v[22:23], -v[12:13], v[28:29], 1.0
	s_delay_alu instid0(VALU_DEP_1) | instskip(NEXT) | instid1(VALU_DEP_1)
	v_fmac_f64_e32 v[28:29], v[28:29], v[22:23]
	v_mul_f64_e32 v[30:31], v[24:25], v[28:29]
	s_delay_alu instid0(VALU_DEP_1)
	v_fma_f64 v[32:33], -v[12:13], v[30:31], v[24:25]
	v_lshl_add_u32 v12, v9, 4, v21
	ds_load_b128 v[22:25], v12
	s_wait_storecnt_dscnt 0x0
	v_mul_f64_e32 v[34:35], v[24:25], v[4:5]
	v_mul_f64_e64 v[4:5], v[4:5], -v[22:23]
	v_div_fmas_f64 v[28:29], v[32:33], v[28:29], v[30:31]
	s_delay_alu instid0(VALU_DEP_3) | instskip(NEXT) | instid1(VALU_DEP_3)
	v_fmac_f64_e32 v[34:35], v[22:23], v[2:3]
	v_fmac_f64_e32 v[4:5], v[24:25], v[2:3]
	s_delay_alu instid0(VALU_DEP_3) | instskip(NEXT) | instid1(VALU_DEP_1)
	v_div_fixup_f64 v[22:23], v[28:29], v[26:27], 1.0
	v_mul_f64_e32 v[2:3], v[34:35], v[22:23]
	s_delay_alu instid0(VALU_DEP_3)
	v_mul_f64_e32 v[4:5], v[4:5], v[22:23]
	s_wait_xcnt 0x0
	s_and_saveexec_b32 s10, s1
; %bb.127:                              ;   in Loop: Header=BB24_126 Depth=2
	ds_store_b128 v12, v[2:5]
; %bb.128:                              ;   in Loop: Header=BB24_126 Depth=2
	s_or_b32 exec_lo, exec_lo, s10
	s_and_saveexec_b32 s10, s3
	s_cbranch_execz .LBB24_125
; %bb.129:                              ;   in Loop: Header=BB24_126 Depth=2
	v_dual_mov_b32 v12, v17 :: v_dual_mov_b32 v13, v11
	v_mov_b32_e32 v22, v10
	s_mov_b32 s11, 0
.LBB24_130:                             ;   Parent Loop BB24_109 Depth=1
                                        ;     Parent Loop BB24_126 Depth=2
                                        ; =>    This Inner Loop Header: Depth=3
	ds_load_b128 v[24:27], v12
	ds_load_b128 v[28:31], v13
	v_add_nc_u32_e32 v12, 0x440, v12
	v_add_nc_u32_e32 v22, 4, v22
	s_delay_alu instid0(VALU_DEP_1) | instskip(SKIP_4) | instid1(VALU_DEP_2)
	v_cmp_le_i32_e32 vcc_lo, s25, v22
	s_or_b32 s11, vcc_lo, s11
	s_wait_dscnt 0x0
	v_fma_f64 v[28:29], -v[2:3], v[24:25], v[28:29]
	v_fma_f64 v[24:25], -v[4:5], v[24:25], v[30:31]
	v_fmac_f64_e32 v[28:29], v[4:5], v[26:27]
	s_delay_alu instid0(VALU_DEP_2)
	v_fma_f64 v[30:31], -v[2:3], v[26:27], v[24:25]
	ds_store_b128 v13, v[28:31]
	v_add_nc_u32_e32 v13, 0x440, v13
	s_and_not1_b32 exec_lo, exec_lo, s11
	s_cbranch_execnz .LBB24_130
	s_branch .LBB24_125
.LBB24_131:                             ;   in Loop: Header=BB24_109 Depth=1
	s_or_b32 exec_lo, exec_lo, s8
	s_delay_alu instid0(SALU_CYCLE_1)
	s_and_not1_b32 s6, s6, exec_lo
	s_or_b32 exec_lo, exec_lo, s7
	s_and_saveexec_b32 s3, s6
	s_cbranch_execz .LBB24_108
.LBB24_132:                             ;   in Loop: Header=BB24_109 Depth=1
	v_add_nc_u32_e32 v8, 1, v20
	s_or_b32 s31, s31, exec_lo
	s_branch .LBB24_108
.LBB24_133:
	s_or_b32 exec_lo, exec_lo, s5
	s_wait_storecnt_dscnt 0x0
	s_and_saveexec_b32 s1, s0
	s_cbranch_execnz .LBB24_135
	s_branch .LBB24_144
.LBB24_134:
	s_mov_b32 s4, s31
	s_and_saveexec_b32 s1, s0
	s_cbranch_execz .LBB24_144
.LBB24_135:
	s_mul_i32 s2, s30, s25
	v_bfe_u32 v1, v0, 10, 10
	v_add_nc_u32_e32 v2, s2, v14
	s_cmp_lg_u32 s28, 0
	s_mov_b32 s3, 0
	s_cselect_b32 s5, -1, 0
	v_cmp_gt_u32_e64 s0, s25, v1
	v_mul_lo_u32 v2, s25, v2
	v_mad_u32_u24 v3, 0x110, v1, v15
	s_lshl_b32 s6, s25, 4
	s_branch .LBB24_137
.LBB24_136:                             ;   in Loop: Header=BB24_137 Depth=1
	s_or_b32 exec_lo, exec_lo, s7
	v_add_nc_u32_e32 v14, 16, v14
	s_delay_alu instid0(VALU_DEP_3) | instskip(SKIP_1) | instid1(VALU_DEP_3)
	v_add_nc_u32_e32 v2, s6, v2
	v_add_nc_u32_e32 v3, 0x100, v3
	v_cmp_le_i32_e32 vcc_lo, s25, v14
	s_or_b32 s3, vcc_lo, s3
	s_delay_alu instid0(SALU_CYCLE_1)
	s_and_not1_b32 exec_lo, exec_lo, s3
	s_cbranch_execz .LBB24_144
.LBB24_137:                             ; =>This Loop Header: Depth=1
                                        ;     Child Loop BB24_140 Depth 2
	s_and_saveexec_b32 s7, s0
	s_cbranch_execz .LBB24_136
; %bb.138:                              ;   in Loop: Header=BB24_137 Depth=1
	v_dual_mov_b32 v4, v3 :: v_dual_mov_b32 v5, v1
	s_mov_b32 s8, 0
	s_branch .LBB24_140
.LBB24_139:                             ;   in Loop: Header=BB24_140 Depth=2
	ds_load_2addr_b64 v[8:11], v4 offset1:1
	v_add_nc_u32_e32 v5, 4, v5
	v_add_nc_u32_e32 v4, 0x440, v4
	s_delay_alu instid0(VALU_DEP_2)
	v_cmp_le_i32_e32 vcc_lo, s25, v5
	s_or_b32 s8, vcc_lo, s8
	s_wait_dscnt 0x0
	global_store_b128 v6, v[8:11], s[12:13] scale_offset
	s_wait_xcnt 0x0
	s_and_not1_b32 exec_lo, exec_lo, s8
	s_cbranch_execz .LBB24_136
.LBB24_140:                             ;   Parent Loop BB24_137 Depth=1
                                        ; =>  This Inner Loop Header: Depth=2
	s_and_b32 vcc_lo, exec_lo, s5
	s_cbranch_vccz .LBB24_142
; %bb.141:                              ;   in Loop: Header=BB24_140 Depth=2
	v_add_nc_u32_e32 v6, s2, v5
	s_delay_alu instid0(VALU_DEP_1)
	v_mad_u32 v6, v6, s25, v14
	s_cbranch_execnz .LBB24_139
	s_branch .LBB24_143
.LBB24_142:                             ;   in Loop: Header=BB24_140 Depth=2
                                        ; implicit-def: $vgpr6
.LBB24_143:                             ;   in Loop: Header=BB24_140 Depth=2
	v_add_nc_u32_e32 v6, v2, v5
	s_branch .LBB24_139
.LBB24_144:
	s_or_b32 exec_lo, exec_lo, s1
	s_add_co_i32 s5, s30, 1
	s_delay_alu instid0(SALU_CYCLE_1)
	s_cmp_ge_i32 s5, s27
	s_cbranch_scc1 .LBB24_196
.LBB24_145:
	v_and_b32_e32 v1, 0x3ff, v0
	v_bfe_u32 v2, v0, 10, 10
	s_cmp_lg_u32 s28, 0
	s_movk_i32 s3, 0x1110
	s_cselect_b32 s6, -1, 0
	v_mad_u32 v4, s25, s5, v1
	v_dual_add_nc_u32 v3, 1, v2 :: v_dual_lshlrev_b32 v8, 4, v2
	s_cmp_gt_i32 s25, 0
	v_mul_u32_u24_e32 v5, 0x110, v2
	s_cselect_b32 s7, -1, 0
	s_cmp_lg_u32 s25, 1
	v_dual_lshlrev_b32 v6, 4, v1 :: v_dual_add_nc_u32 v7, 16, v8
	v_mad_u32_u24 v9, 0x110, v1, v8
	s_cselect_b32 s8, -1, 0
	s_and_b32 s9, s25, 0x7ffffffe
	s_bitcmp1_b32 s25, 0
	v_cmp_gt_i32_e64 s0, s25, v1
	v_cmp_le_i32_e64 s1, s25, v1
	v_cmp_gt_i32_e64 s2, s25, v2
	v_mul_lo_u32 v4, s25, v4
	v_add3_u32 v5, v5, v6, 0x1100
	v_add_nc_u32_e32 v6, 0x1110, v9
	v_add_nc_u32_e32 v8, 0x130, v8
	;; [unrolled: 1-line block ×3, first 2 shown]
	v_mad_u32_u24 v10, 0x110, v1, s3
	s_cselect_b32 s10, -1, 0
	s_mul_i32 s11, s25, s25
	s_lshl_b32 s14, s25, 4
	s_branch .LBB24_148
.LBB24_146:                             ;   in Loop: Header=BB24_148 Depth=1
	s_or_b32 exec_lo, exec_lo, s15
.LBB24_147:                             ;   in Loop: Header=BB24_148 Depth=1
	s_delay_alu instid0(SALU_CYCLE_1) | instskip(SKIP_2) | instid1(SALU_CYCLE_1)
	s_or_b32 exec_lo, exec_lo, s3
	v_add_nc_u32_e32 v4, s11, v4
	s_add_co_i32 s5, s5, 1
	s_cmp_ge_i32 s5, s27
	s_cbranch_scc1 .LBB24_196
.LBB24_148:                             ; =>This Loop Header: Depth=1
                                        ;     Child Loop BB24_151 Depth 2
                                        ;       Child Loop BB24_154 Depth 3
                                        ;     Child Loop BB24_162 Depth 2
                                        ;       Child Loop BB24_165 Depth 3
                                        ;         Child Loop BB24_167 Depth 4
                                        ;       Child Loop BB24_170 Depth 3
                                        ;         Child Loop BB24_172 Depth 4
                                        ;     Child Loop BB24_179 Depth 2
                                        ;       Child Loop BB24_181 Depth 3
                                        ;     Child Loop BB24_189 Depth 2
                                        ;       Child Loop BB24_192 Depth 3
	s_wait_storecnt_dscnt 0x0
	s_and_saveexec_b32 s3, s0
	s_cbranch_execz .LBB24_158
; %bb.149:                              ;   in Loop: Header=BB24_148 Depth=1
	v_dual_mov_b32 v11, v5 :: v_dual_mov_b32 v12, v4
	v_mov_b32_e32 v13, v1
	s_mul_i32 s15, s5, s25
	s_mov_b32 s16, 0
	s_branch .LBB24_151
.LBB24_150:                             ;   in Loop: Header=BB24_151 Depth=2
	s_or_b32 exec_lo, exec_lo, s17
	v_dual_add_nc_u32 v13, 16, v13 :: v_dual_add_nc_u32 v12, s14, v12
	v_add_nc_u32_e32 v11, 0x100, v11
	s_delay_alu instid0(VALU_DEP_2) | instskip(SKIP_1) | instid1(SALU_CYCLE_1)
	v_cmp_le_i32_e32 vcc_lo, s25, v13
	s_or_b32 s16, vcc_lo, s16
	s_and_not1_b32 exec_lo, exec_lo, s16
	s_cbranch_execz .LBB24_158
.LBB24_151:                             ;   Parent Loop BB24_148 Depth=1
                                        ; =>  This Loop Header: Depth=2
                                        ;       Child Loop BB24_154 Depth 3
	s_and_saveexec_b32 s17, s2
	s_cbranch_execz .LBB24_150
; %bb.152:                              ;   in Loop: Header=BB24_151 Depth=2
	v_dual_mov_b32 v14, v11 :: v_dual_mov_b32 v15, v2
	s_mov_b32 s28, 0
	s_branch .LBB24_154
.LBB24_153:                             ;   in Loop: Header=BB24_154 Depth=3
	global_load_b128 v[16:19], v16, s[12:13] scale_offset
	v_add_nc_u32_e32 v15, 4, v15
	s_delay_alu instid0(VALU_DEP_1)
	v_cmp_le_i32_e32 vcc_lo, s25, v15
	s_or_b32 s28, vcc_lo, s28
	s_wait_loadcnt 0x0
	ds_store_2addr_b64 v14, v[16:17], v[18:19] offset1:1
	v_add_nc_u32_e32 v14, 0x440, v14
	s_wait_xcnt 0x0
	s_and_not1_b32 exec_lo, exec_lo, s28
	s_cbranch_execz .LBB24_150
.LBB24_154:                             ;   Parent Loop BB24_148 Depth=1
                                        ;     Parent Loop BB24_151 Depth=2
                                        ; =>    This Inner Loop Header: Depth=3
	s_and_b32 vcc_lo, exec_lo, s6
	s_cbranch_vccz .LBB24_156
; %bb.155:                              ;   in Loop: Header=BB24_154 Depth=3
	v_add_nc_u32_e32 v16, s15, v15
	s_delay_alu instid0(VALU_DEP_1)
	v_mad_u32 v16, v16, s25, v13
	s_cbranch_execnz .LBB24_153
	s_branch .LBB24_157
.LBB24_156:                             ;   in Loop: Header=BB24_154 Depth=3
                                        ; implicit-def: $vgpr16
.LBB24_157:                             ;   in Loop: Header=BB24_154 Depth=3
	v_add_nc_u32_e32 v16, v12, v15
	s_branch .LBB24_153
.LBB24_158:                             ;   in Loop: Header=BB24_148 Depth=1
	s_or_b32 exec_lo, exec_lo, s3
	s_delay_alu instid0(SALU_CYCLE_1)
	s_and_not1_b32 vcc_lo, exec_lo, s7
	s_wait_dscnt 0x0
	s_cbranch_vccnz .LBB24_182
; %bb.159:                              ;   in Loop: Header=BB24_148 Depth=1
	s_and_not1_b32 vcc_lo, exec_lo, s8
	s_mov_b32 s3, 0
	s_cbranch_vccnz .LBB24_173
; %bb.160:                              ;   in Loop: Header=BB24_148 Depth=1
	v_dual_mov_b32 v11, v9 :: v_dual_mov_b32 v12, v8
	v_dual_mov_b32 v13, v7 :: v_dual_mov_b32 v14, v6
	s_mov_b32 s15, 0
	s_branch .LBB24_162
.LBB24_161:                             ;   in Loop: Header=BB24_162 Depth=2
	s_or_b32 exec_lo, exec_lo, s16
	v_dual_add_nc_u32 v14, 32, v14 :: v_dual_add_nc_u32 v11, 32, v11
	v_add_nc_u32_e32 v13, 0x240, v13
	v_add_nc_u32_e32 v12, 0x240, v12
	s_add_co_i32 s15, s15, 2
	s_mov_b32 s3, s9
	s_cmp_eq_u32 s15, s9
	s_cbranch_scc1 .LBB24_173
.LBB24_162:                             ;   Parent Loop BB24_148 Depth=1
                                        ; =>  This Loop Header: Depth=2
                                        ;       Child Loop BB24_165 Depth 3
                                        ;         Child Loop BB24_167 Depth 4
                                        ;       Child Loop BB24_170 Depth 3
                                        ;         Child Loop BB24_172 Depth 4
	s_and_saveexec_b32 s16, s0
	s_cbranch_execz .LBB24_161
; %bb.163:                              ;   in Loop: Header=BB24_162 Depth=2
	v_dual_mov_b32 v16, v14 :: v_dual_add_nc_u32 v15, s15, v3
	v_mov_b32_e32 v17, v1
	s_lshl_b32 s17, s15, 4
	s_mov_b32 s28, 0
	s_addk_co_i32 s17, 0x1100
	v_cmp_gt_i32_e32 vcc_lo, s25, v15
	s_branch .LBB24_165
.LBB24_164:                             ;   in Loop: Header=BB24_165 Depth=3
	s_or_b32 exec_lo, exec_lo, s29
	v_add_nc_u32_e32 v17, 16, v17
	v_add_nc_u32_e32 v16, 0x1100, v16
	s_delay_alu instid0(VALU_DEP_2) | instskip(SKIP_1) | instid1(SALU_CYCLE_1)
	v_cmp_le_i32_e64 s3, s25, v17
	s_or_b32 s28, s3, s28
	s_and_not1_b32 exec_lo, exec_lo, s28
	s_cbranch_execz .LBB24_168
.LBB24_165:                             ;   Parent Loop BB24_148 Depth=1
                                        ;     Parent Loop BB24_162 Depth=2
                                        ; =>    This Loop Header: Depth=3
                                        ;         Child Loop BB24_167 Depth 4
	s_and_saveexec_b32 s29, vcc_lo
	s_cbranch_execz .LBB24_164
; %bb.166:                              ;   in Loop: Header=BB24_165 Depth=3
	v_mad_u32 v18, 0x110, v17, s17
	v_dual_mov_b32 v19, v13 :: v_dual_mov_b32 v20, v16
	v_mov_b32_e32 v21, v15
	s_mov_b32 s30, 0
.LBB24_167:                             ;   Parent Loop BB24_148 Depth=1
                                        ;     Parent Loop BB24_162 Depth=2
                                        ;       Parent Loop BB24_165 Depth=3
                                        ; =>      This Inner Loop Header: Depth=4
	ds_load_b128 v[22:25], v19
	ds_load_b128 v[26:29], v18
	;; [unrolled: 1-line block ×3, first 2 shown]
	v_dual_add_nc_u32 v21, 4, v21 :: v_dual_add_nc_u32 v19, 64, v19
	s_delay_alu instid0(VALU_DEP_1) | instskip(SKIP_4) | instid1(VALU_DEP_2)
	v_cmp_le_i32_e64 s3, s25, v21
	s_or_b32 s30, s3, s30
	s_wait_dscnt 0x0
	v_fma_f64 v[30:31], -v[22:23], v[26:27], v[30:31]
	v_fma_f64 v[26:27], -v[24:25], v[26:27], v[32:33]
	v_fmac_f64_e32 v[30:31], v[24:25], v[28:29]
	s_delay_alu instid0(VALU_DEP_2)
	v_fma_f64 v[32:33], -v[22:23], v[28:29], v[26:27]
	ds_store_b128 v20, v[30:33]
	v_add_nc_u32_e32 v20, 64, v20
	s_and_not1_b32 exec_lo, exec_lo, s30
	s_cbranch_execnz .LBB24_167
	s_branch .LBB24_164
.LBB24_168:                             ;   in Loop: Header=BB24_162 Depth=2
	s_or_b32 exec_lo, exec_lo, s28
	v_add3_u32 v15, v3, s15, 1
	v_dual_mov_b32 v16, v11 :: v_dual_mov_b32 v17, v1
	s_mov_b32 s28, 0
	s_delay_alu instid0(VALU_DEP_2)
	v_cmp_gt_i32_e32 vcc_lo, s25, v15
	s_branch .LBB24_170
.LBB24_169:                             ;   in Loop: Header=BB24_170 Depth=3
	s_or_b32 exec_lo, exec_lo, s29
	v_add_nc_u32_e32 v17, 16, v17
	v_add_nc_u32_e32 v16, 0x1100, v16
	s_delay_alu instid0(VALU_DEP_2) | instskip(SKIP_1) | instid1(SALU_CYCLE_1)
	v_cmp_le_i32_e64 s3, s25, v17
	s_or_b32 s28, s3, s28
	s_and_not1_b32 exec_lo, exec_lo, s28
	s_cbranch_execz .LBB24_161
.LBB24_170:                             ;   Parent Loop BB24_148 Depth=1
                                        ;     Parent Loop BB24_162 Depth=2
                                        ; =>    This Loop Header: Depth=3
                                        ;         Child Loop BB24_172 Depth 4
	s_and_saveexec_b32 s29, vcc_lo
	s_cbranch_execz .LBB24_169
; %bb.171:                              ;   in Loop: Header=BB24_170 Depth=3
	v_mad_u32 v18, 0x110, v17, s17
	v_dual_mov_b32 v19, v16 :: v_dual_mov_b32 v20, v12
	v_mov_b32_e32 v21, v15
	s_mov_b32 s30, 0
.LBB24_172:                             ;   Parent Loop BB24_148 Depth=1
                                        ;     Parent Loop BB24_162 Depth=2
                                        ;       Parent Loop BB24_170 Depth=3
                                        ; =>      This Inner Loop Header: Depth=4
	ds_load_b128 v[22:25], v20
	ds_load_b128 v[26:29], v18 offset:16
	ds_load_b128 v[30:33], v19
	v_dual_add_nc_u32 v21, 4, v21 :: v_dual_add_nc_u32 v20, 64, v20
	s_delay_alu instid0(VALU_DEP_1) | instskip(SKIP_4) | instid1(VALU_DEP_2)
	v_cmp_le_i32_e64 s3, s25, v21
	s_or_b32 s30, s3, s30
	s_wait_dscnt 0x0
	v_fma_f64 v[30:31], -v[22:23], v[26:27], v[30:31]
	v_fma_f64 v[26:27], -v[24:25], v[26:27], v[32:33]
	v_fmac_f64_e32 v[30:31], v[24:25], v[28:29]
	s_delay_alu instid0(VALU_DEP_2)
	v_fma_f64 v[32:33], -v[22:23], v[28:29], v[26:27]
	ds_store_b128 v19, v[30:33]
	v_add_nc_u32_e32 v19, 64, v19
	s_and_not1_b32 exec_lo, exec_lo, s30
	s_cbranch_execnz .LBB24_172
	s_branch .LBB24_169
.LBB24_173:                             ;   in Loop: Header=BB24_148 Depth=1
	s_and_not1_b32 vcc_lo, exec_lo, s10
	s_mov_b32 s16, -1
	s_cbranch_vccnz .LBB24_183
; %bb.174:                              ;   in Loop: Header=BB24_148 Depth=1
	s_and_saveexec_b32 s15, s1
	s_delay_alu instid0(SALU_CYCLE_1)
	s_xor_b32 s15, exec_lo, s15
	s_cbranch_execz .LBB24_176
; %bb.175:                              ;   in Loop: Header=BB24_148 Depth=1
	s_wait_dscnt 0x0
.LBB24_176:                             ;   in Loop: Header=BB24_148 Depth=1
	s_or_saveexec_b32 s15, s15
	s_mov_b32 s16, 0
	s_xor_b32 exec_lo, exec_lo, s15
	s_cbranch_execz .LBB24_185
; %bb.177:                              ;   in Loop: Header=BB24_148 Depth=1
	v_mad_u32 v12, 0x120, s3, v7
	v_dual_add_nc_u32 v11, s3, v3 :: v_dual_add_nc_u32 v13, s3, v2
	v_mov_b32_e32 v14, v1
	s_lshl_b32 s17, s3, 4
	s_delay_alu instid0(SALU_CYCLE_1) | instskip(NEXT) | instid1(VALU_DEP_2)
	s_addk_co_i32 s17, 0x1100
	v_lshl_add_u32 v13, v13, 4, v10
	v_cmp_gt_i32_e32 vcc_lo, s25, v11
	s_branch .LBB24_179
.LBB24_178:                             ;   in Loop: Header=BB24_179 Depth=2
	s_or_b32 exec_lo, exec_lo, s28
	v_add_nc_u32_e32 v14, 16, v14
	v_add_nc_u32_e32 v13, 0x1100, v13
	s_delay_alu instid0(VALU_DEP_2) | instskip(SKIP_1) | instid1(SALU_CYCLE_1)
	v_cmp_le_i32_e64 s3, s25, v14
	s_or_b32 s16, s3, s16
	s_and_not1_b32 exec_lo, exec_lo, s16
	s_cbranch_execz .LBB24_184
.LBB24_179:                             ;   Parent Loop BB24_148 Depth=1
                                        ; =>  This Loop Header: Depth=2
                                        ;       Child Loop BB24_181 Depth 3
	s_and_saveexec_b32 s28, vcc_lo
	s_cbranch_execz .LBB24_178
; %bb.180:                              ;   in Loop: Header=BB24_179 Depth=2
	v_mad_u32 v15, 0x110, v14, s17
	v_dual_mov_b32 v16, v12 :: v_dual_mov_b32 v17, v13
	v_mov_b32_e32 v18, v11
	s_mov_b32 s29, 0
.LBB24_181:                             ;   Parent Loop BB24_148 Depth=1
                                        ;     Parent Loop BB24_179 Depth=2
                                        ; =>    This Inner Loop Header: Depth=3
	ds_load_b128 v[20:23], v16
	ds_load_b128 v[24:27], v15
	;; [unrolled: 1-line block ×3, first 2 shown]
	v_dual_add_nc_u32 v16, 64, v16 :: v_dual_add_nc_u32 v18, 4, v18
	s_delay_alu instid0(VALU_DEP_1) | instskip(SKIP_4) | instid1(VALU_DEP_2)
	v_cmp_le_i32_e64 s3, s25, v18
	s_or_b32 s29, s3, s29
	s_wait_dscnt 0x0
	v_fma_f64 v[28:29], -v[20:21], v[24:25], v[28:29]
	v_fma_f64 v[24:25], -v[22:23], v[24:25], v[30:31]
	v_fmac_f64_e32 v[28:29], v[22:23], v[26:27]
	s_delay_alu instid0(VALU_DEP_2)
	v_fma_f64 v[30:31], -v[20:21], v[26:27], v[24:25]
	ds_store_b128 v17, v[28:31]
	v_add_nc_u32_e32 v17, 64, v17
	s_and_not1_b32 exec_lo, exec_lo, s29
	s_cbranch_execnz .LBB24_181
	s_branch .LBB24_178
.LBB24_182:                             ;   in Loop: Header=BB24_148 Depth=1
	s_mov_b32 s16, -1
.LBB24_183:                             ;   in Loop: Header=BB24_148 Depth=1
	s_delay_alu instid0(SALU_CYCLE_1) | instskip(NEXT) | instid1(SALU_CYCLE_1)
	s_and_saveexec_b32 s3, s16
	s_xor_b32 s3, exec_lo, s3
	s_cbranch_execz .LBB24_147
	s_branch .LBB24_186
.LBB24_184:                             ;   in Loop: Header=BB24_148 Depth=1
	s_or_b32 exec_lo, exec_lo, s16
	s_delay_alu instid0(SALU_CYCLE_1)
	s_mov_b32 s16, exec_lo
.LBB24_185:                             ;   in Loop: Header=BB24_148 Depth=1
	s_or_b32 exec_lo, exec_lo, s15
	s_and_saveexec_b32 s3, s16
	s_delay_alu instid0(SALU_CYCLE_1)
	s_xor_b32 s3, exec_lo, s3
	s_cbranch_execz .LBB24_147
.LBB24_186:                             ;   in Loop: Header=BB24_148 Depth=1
	s_wait_dscnt 0x0
	s_and_saveexec_b32 s15, s0
	s_cbranch_execz .LBB24_146
; %bb.187:                              ;   in Loop: Header=BB24_148 Depth=1
	v_dual_mov_b32 v11, v5 :: v_dual_mov_b32 v12, v4
	v_mov_b32_e32 v13, v1
	s_mul_i32 s16, s5, s25
	s_mov_b32 s17, 0
	s_branch .LBB24_189
.LBB24_188:                             ;   in Loop: Header=BB24_189 Depth=2
	s_or_b32 exec_lo, exec_lo, s28
	v_dual_add_nc_u32 v13, 16, v13 :: v_dual_add_nc_u32 v12, s14, v12
	v_add_nc_u32_e32 v11, 0x100, v11
	s_delay_alu instid0(VALU_DEP_2) | instskip(SKIP_1) | instid1(SALU_CYCLE_1)
	v_cmp_le_i32_e32 vcc_lo, s25, v13
	s_or_b32 s17, vcc_lo, s17
	s_and_not1_b32 exec_lo, exec_lo, s17
	s_cbranch_execz .LBB24_146
.LBB24_189:                             ;   Parent Loop BB24_148 Depth=1
                                        ; =>  This Loop Header: Depth=2
                                        ;       Child Loop BB24_192 Depth 3
	s_and_saveexec_b32 s28, s2
	s_cbranch_execz .LBB24_188
; %bb.190:                              ;   in Loop: Header=BB24_189 Depth=2
	v_dual_mov_b32 v14, v11 :: v_dual_mov_b32 v15, v2
	s_mov_b32 s29, 0
	s_branch .LBB24_192
.LBB24_191:                             ;   in Loop: Header=BB24_192 Depth=3
	ds_load_2addr_b64 v[18:21], v14 offset1:1
	v_add_nc_u32_e32 v15, 4, v15
	v_add_nc_u32_e32 v14, 0x440, v14
	s_delay_alu instid0(VALU_DEP_2)
	v_cmp_le_i32_e32 vcc_lo, s25, v15
	s_or_b32 s29, vcc_lo, s29
	s_wait_dscnt 0x0
	global_store_b128 v16, v[18:21], s[12:13] scale_offset
	s_wait_xcnt 0x0
	s_and_not1_b32 exec_lo, exec_lo, s29
	s_cbranch_execz .LBB24_188
.LBB24_192:                             ;   Parent Loop BB24_148 Depth=1
                                        ;     Parent Loop BB24_189 Depth=2
                                        ; =>    This Inner Loop Header: Depth=3
	s_and_b32 vcc_lo, exec_lo, s6
	s_cbranch_vccz .LBB24_194
; %bb.193:                              ;   in Loop: Header=BB24_192 Depth=3
	v_add_nc_u32_e32 v16, s16, v15
	s_delay_alu instid0(VALU_DEP_1)
	v_mad_u32 v16, v16, s25, v13
	s_cbranch_execnz .LBB24_191
	s_branch .LBB24_195
.LBB24_194:                             ;   in Loop: Header=BB24_192 Depth=3
                                        ; implicit-def: $vgpr16
.LBB24_195:                             ;   in Loop: Header=BB24_192 Depth=3
	v_add_nc_u32_e32 v16, v12, v15
	s_branch .LBB24_191
.LBB24_196:
	v_and_b32_e32 v0, 0xfffff, v0
	s_mov_b32 s0, exec_lo
	s_delay_alu instid0(VALU_DEP_1)
	v_cmpx_eq_u32_e32 0, v0
	s_cbranch_execz .LBB24_200
; %bb.197:
	v_dual_mov_b32 v0, 0 :: v_dual_mov_b32 v1, 1
	s_add_nc_u64 s[0:1], s[20:21], s[22:23]
	global_wb scope:SCOPE_DEV
	s_wait_storecnt_dscnt 0x0
	global_store_b32 v0, v1, s[0:1] scope:SCOPE_DEV
	s_wait_xcnt 0x0
	s_and_b32 exec_lo, exec_lo, s4
	s_cbranch_execz .LBB24_200
; %bb.198:
	v_mbcnt_lo_u32_b32 v0, exec_lo, 0
	s_delay_alu instid0(VALU_DEP_1)
	v_cmp_eq_u32_e32 vcc_lo, 0, v0
	s_and_b32 exec_lo, exec_lo, vcc_lo
	s_cbranch_execz .LBB24_200
; %bb.199:
	s_add_co_i32 s0, s26, s24
	s_delay_alu instid0(SALU_CYCLE_1)
	v_dual_mov_b32 v0, 0 :: v_dual_mov_b32 v1, s0
	global_atomic_min_i32 v0, v1, s[18:19] scope:SCOPE_DEV
.LBB24_200:
	s_endpgm
	.section	.rodata,"a",@progbits
	.p2align	6, 0x0
	.amdhsa_kernel _ZN9rocsparseL12bsrilu0_9_32ILj64ELj64ELj16E21rocsparse_complex_numIdEEEv20rocsparse_direction_iPKiS5_PT2_S5_iPiS5_S8_21rocsparse_index_base_imNS_24const_host_device_scalarIfEENSA_IdEENSA_IS6_EEb
		.amdhsa_group_segment_fixed_size 8704
		.amdhsa_private_segment_fixed_size 48
		.amdhsa_kernarg_size 124
		.amdhsa_user_sgpr_count 2
		.amdhsa_user_sgpr_dispatch_ptr 0
		.amdhsa_user_sgpr_queue_ptr 0
		.amdhsa_user_sgpr_kernarg_segment_ptr 1
		.amdhsa_user_sgpr_dispatch_id 0
		.amdhsa_user_sgpr_kernarg_preload_length 0
		.amdhsa_user_sgpr_kernarg_preload_offset 0
		.amdhsa_user_sgpr_private_segment_size 0
		.amdhsa_wavefront_size32 1
		.amdhsa_uses_dynamic_stack 0
		.amdhsa_enable_private_segment 1
		.amdhsa_system_sgpr_workgroup_id_x 1
		.amdhsa_system_sgpr_workgroup_id_y 0
		.amdhsa_system_sgpr_workgroup_id_z 0
		.amdhsa_system_sgpr_workgroup_info 0
		.amdhsa_system_vgpr_workitem_id 1
		.amdhsa_next_free_vgpr 81
		.amdhsa_next_free_sgpr 46
		.amdhsa_named_barrier_count 0
		.amdhsa_reserve_vcc 1
		.amdhsa_float_round_mode_32 0
		.amdhsa_float_round_mode_16_64 0
		.amdhsa_float_denorm_mode_32 3
		.amdhsa_float_denorm_mode_16_64 3
		.amdhsa_fp16_overflow 0
		.amdhsa_memory_ordered 1
		.amdhsa_forward_progress 1
		.amdhsa_inst_pref_size 53
		.amdhsa_round_robin_scheduling 0
		.amdhsa_exception_fp_ieee_invalid_op 0
		.amdhsa_exception_fp_denorm_src 0
		.amdhsa_exception_fp_ieee_div_zero 0
		.amdhsa_exception_fp_ieee_overflow 0
		.amdhsa_exception_fp_ieee_underflow 0
		.amdhsa_exception_fp_ieee_inexact 0
		.amdhsa_exception_int_div_zero 0
	.end_amdhsa_kernel
	.section	.text._ZN9rocsparseL12bsrilu0_9_32ILj64ELj64ELj16E21rocsparse_complex_numIdEEEv20rocsparse_direction_iPKiS5_PT2_S5_iPiS5_S8_21rocsparse_index_base_imNS_24const_host_device_scalarIfEENSA_IdEENSA_IS6_EEb,"axG",@progbits,_ZN9rocsparseL12bsrilu0_9_32ILj64ELj64ELj16E21rocsparse_complex_numIdEEEv20rocsparse_direction_iPKiS5_PT2_S5_iPiS5_S8_21rocsparse_index_base_imNS_24const_host_device_scalarIfEENSA_IdEENSA_IS6_EEb,comdat
.Lfunc_end24:
	.size	_ZN9rocsparseL12bsrilu0_9_32ILj64ELj64ELj16E21rocsparse_complex_numIdEEEv20rocsparse_direction_iPKiS5_PT2_S5_iPiS5_S8_21rocsparse_index_base_imNS_24const_host_device_scalarIfEENSA_IdEENSA_IS6_EEb, .Lfunc_end24-_ZN9rocsparseL12bsrilu0_9_32ILj64ELj64ELj16E21rocsparse_complex_numIdEEEv20rocsparse_direction_iPKiS5_PT2_S5_iPiS5_S8_21rocsparse_index_base_imNS_24const_host_device_scalarIfEENSA_IdEENSA_IS6_EEb
                                        ; -- End function
	.set _ZN9rocsparseL12bsrilu0_9_32ILj64ELj64ELj16E21rocsparse_complex_numIdEEEv20rocsparse_direction_iPKiS5_PT2_S5_iPiS5_S8_21rocsparse_index_base_imNS_24const_host_device_scalarIfEENSA_IdEENSA_IS6_EEb.num_vgpr, 44
	.set _ZN9rocsparseL12bsrilu0_9_32ILj64ELj64ELj16E21rocsparse_complex_numIdEEEv20rocsparse_direction_iPKiS5_PT2_S5_iPiS5_S8_21rocsparse_index_base_imNS_24const_host_device_scalarIfEENSA_IdEENSA_IS6_EEb.num_agpr, 0
	.set _ZN9rocsparseL12bsrilu0_9_32ILj64ELj64ELj16E21rocsparse_complex_numIdEEEv20rocsparse_direction_iPKiS5_PT2_S5_iPiS5_S8_21rocsparse_index_base_imNS_24const_host_device_scalarIfEENSA_IdEENSA_IS6_EEb.numbered_sgpr, 46
	.set _ZN9rocsparseL12bsrilu0_9_32ILj64ELj64ELj16E21rocsparse_complex_numIdEEEv20rocsparse_direction_iPKiS5_PT2_S5_iPiS5_S8_21rocsparse_index_base_imNS_24const_host_device_scalarIfEENSA_IdEENSA_IS6_EEb.num_named_barrier, 0
	.set _ZN9rocsparseL12bsrilu0_9_32ILj64ELj64ELj16E21rocsparse_complex_numIdEEEv20rocsparse_direction_iPKiS5_PT2_S5_iPiS5_S8_21rocsparse_index_base_imNS_24const_host_device_scalarIfEENSA_IdEENSA_IS6_EEb.private_seg_size, 48
	.set _ZN9rocsparseL12bsrilu0_9_32ILj64ELj64ELj16E21rocsparse_complex_numIdEEEv20rocsparse_direction_iPKiS5_PT2_S5_iPiS5_S8_21rocsparse_index_base_imNS_24const_host_device_scalarIfEENSA_IdEENSA_IS6_EEb.uses_vcc, 1
	.set _ZN9rocsparseL12bsrilu0_9_32ILj64ELj64ELj16E21rocsparse_complex_numIdEEEv20rocsparse_direction_iPKiS5_PT2_S5_iPiS5_S8_21rocsparse_index_base_imNS_24const_host_device_scalarIfEENSA_IdEENSA_IS6_EEb.uses_flat_scratch, 0
	.set _ZN9rocsparseL12bsrilu0_9_32ILj64ELj64ELj16E21rocsparse_complex_numIdEEEv20rocsparse_direction_iPKiS5_PT2_S5_iPiS5_S8_21rocsparse_index_base_imNS_24const_host_device_scalarIfEENSA_IdEENSA_IS6_EEb.has_dyn_sized_stack, 0
	.set _ZN9rocsparseL12bsrilu0_9_32ILj64ELj64ELj16E21rocsparse_complex_numIdEEEv20rocsparse_direction_iPKiS5_PT2_S5_iPiS5_S8_21rocsparse_index_base_imNS_24const_host_device_scalarIfEENSA_IdEENSA_IS6_EEb.has_recursion, 0
	.set _ZN9rocsparseL12bsrilu0_9_32ILj64ELj64ELj16E21rocsparse_complex_numIdEEEv20rocsparse_direction_iPKiS5_PT2_S5_iPiS5_S8_21rocsparse_index_base_imNS_24const_host_device_scalarIfEENSA_IdEENSA_IS6_EEb.has_indirect_call, 0
	.section	.AMDGPU.csdata,"",@progbits
; Kernel info:
; codeLenInByte = 6688
; TotalNumSgprs: 48
; NumVgprs: 44
; ScratchSize: 48
; MemoryBound: 0
; FloatMode: 240
; IeeeMode: 1
; LDSByteSize: 8704 bytes/workgroup (compile time only)
; SGPRBlocks: 0
; VGPRBlocks: 5
; NumSGPRsForWavesPerEU: 48
; NumVGPRsForWavesPerEU: 81
; NamedBarCnt: 0
; Occupancy: 10
; WaveLimiterHint : 1
; COMPUTE_PGM_RSRC2:SCRATCH_EN: 1
; COMPUTE_PGM_RSRC2:USER_SGPR: 2
; COMPUTE_PGM_RSRC2:TRAP_HANDLER: 0
; COMPUTE_PGM_RSRC2:TGID_X_EN: 1
; COMPUTE_PGM_RSRC2:TGID_Y_EN: 0
; COMPUTE_PGM_RSRC2:TGID_Z_EN: 0
; COMPUTE_PGM_RSRC2:TIDIG_COMP_CNT: 1
	.section	.text._ZN9rocsparseL12bsrilu0_9_32ILj64ELj64ELj32E21rocsparse_complex_numIdEEEv20rocsparse_direction_iPKiS5_PT2_S5_iPiS5_S8_21rocsparse_index_base_imNS_24const_host_device_scalarIfEENSA_IdEENSA_IS6_EEb,"axG",@progbits,_ZN9rocsparseL12bsrilu0_9_32ILj64ELj64ELj32E21rocsparse_complex_numIdEEEv20rocsparse_direction_iPKiS5_PT2_S5_iPiS5_S8_21rocsparse_index_base_imNS_24const_host_device_scalarIfEENSA_IdEENSA_IS6_EEb,comdat
	.globl	_ZN9rocsparseL12bsrilu0_9_32ILj64ELj64ELj32E21rocsparse_complex_numIdEEEv20rocsparse_direction_iPKiS5_PT2_S5_iPiS5_S8_21rocsparse_index_base_imNS_24const_host_device_scalarIfEENSA_IdEENSA_IS6_EEb ; -- Begin function _ZN9rocsparseL12bsrilu0_9_32ILj64ELj64ELj32E21rocsparse_complex_numIdEEEv20rocsparse_direction_iPKiS5_PT2_S5_iPiS5_S8_21rocsparse_index_base_imNS_24const_host_device_scalarIfEENSA_IdEENSA_IS6_EEb
	.p2align	8
	.type	_ZN9rocsparseL12bsrilu0_9_32ILj64ELj64ELj32E21rocsparse_complex_numIdEEEv20rocsparse_direction_iPKiS5_PT2_S5_iPiS5_S8_21rocsparse_index_base_imNS_24const_host_device_scalarIfEENSA_IdEENSA_IS6_EEb,@function
_ZN9rocsparseL12bsrilu0_9_32ILj64ELj64ELj32E21rocsparse_complex_numIdEEEv20rocsparse_direction_iPKiS5_PT2_S5_iPiS5_S8_21rocsparse_index_base_imNS_24const_host_device_scalarIfEENSA_IdEENSA_IS6_EEb: ; @_ZN9rocsparseL12bsrilu0_9_32ILj64ELj64ELj32E21rocsparse_complex_numIdEEEv20rocsparse_direction_iPKiS5_PT2_S5_iPiS5_S8_21rocsparse_index_base_imNS_24const_host_device_scalarIfEENSA_IdEENSA_IS6_EEb
; %bb.0:
	s_clause 0x2
	s_load_b96 s[4:6], s[0:1], 0x70
	s_load_b64 s[24:25], s[0:1], 0x48
	s_load_b256 s[16:23], s[0:1], 0x50
	s_wait_kmcnt 0x0
	s_bitcmp1_b32 s6, 0
	s_cselect_b32 s2, -1, 0
	s_cmp_eq_u32 s25, 0
	v_mov_b64_e32 v[2:3], s[22:23]
	s_cselect_b32 s6, -1, 0
	s_cmp_lg_u32 s25, 0
	s_cselect_b32 s3, -1, 0
	s_or_b32 s9, s6, s2
	s_delay_alu instid0(SALU_CYCLE_1)
	s_xor_b32 s8, s9, -1
	s_and_b32 s6, s6, exec_lo
	s_cselect_b32 s7, 0, s21
	s_cselect_b32 s6, 0, s20
	;; [unrolled: 1-line block ×3, first 2 shown]
	s_and_b32 vcc_lo, exec_lo, s9
	scratch_store_b64 off, v[2:3], off offset:32
	s_cbranch_vccnz .LBB25_2
; %bb.1:
	s_load_b32 s33, s[18:19], 0x0
	s_mov_b64 s[6:7], s[20:21]
.LBB25_2:
	s_delay_alu instid0(SALU_CYCLE_1)
	v_mov_b64_e32 v[10:11], s[6:7]
	s_and_not1_b32 vcc_lo, exec_lo, s8
	s_cbranch_vccnz .LBB25_4
; %bb.3:
	v_mov_b32_e32 v1, 0
	flat_load_b64 v[10:11], v1, s[20:21]
.LBB25_4:
	s_wait_xcnt 0x0
	v_mov_b64_e32 v[2:3], 0
	v_mov_b64_e32 v[4:5], 0
	v_cndmask_b32_e64 v1, 0, 1, s3
	s_and_not1_b32 vcc_lo, exec_lo, s3
	s_cbranch_vccnz .LBB25_7
; %bb.5:
	v_mbcnt_lo_u32_b32 v3, -1, 0
	v_mov_b32_e32 v2, 32
	v_mov_b64_e32 v[4:5], s[4:5]
	s_delay_alu instid0(VALU_DEP_3) | instskip(NEXT) | instid1(VALU_DEP_1)
	v_lshlrev_b32_e32 v3, 20, v3
	v_add_nc_u64_e32 v[2:3], src_flat_scratch_base_lo, v[2:3]
	s_delay_alu instid0(VALU_DEP_1) | instskip(NEXT) | instid1(VALU_DEP_2)
	v_cndmask_b32_e64 v3, s23, v3, s2
	v_cndmask_b32_e64 v2, s22, v2, s2
	s_xor_b32 s2, s2, -1
	s_delay_alu instid0(SALU_CYCLE_1)
	s_and_not1_b32 vcc_lo, exec_lo, s2
	flat_load_b64 v[2:3], v[2:3]
	s_cbranch_vccnz .LBB25_7
; %bb.6:
	v_mov_b32_e32 v4, 0
	flat_load_b64 v[4:5], v4, s[22:23] offset:8
.LBB25_7:
	s_wait_xcnt 0x0
	s_load_b128 s[20:23], s[0:1], 0x30
	s_bfe_u32 s2, ttmp6, 0x4000c
	s_and_b32 s3, ttmp6, 15
	s_add_co_i32 s2, s2, 1
	s_getreg_b32 s4, hwreg(HW_REG_IB_STS2, 6, 4)
	s_mul_i32 s2, ttmp9, s2
	s_mov_b32 s31, 0
	s_add_co_i32 s3, s3, s2
	s_cmp_eq_u32 s4, 0
	s_cselect_b32 s2, ttmp9, s3
	s_load_b64 s[18:19], s[0:1], 0x40
	s_wait_kmcnt 0x0
	s_load_b32 s26, s[22:23], s2 offset:0x0 scale_offset
	s_load_b256 s[8:15], s[0:1], 0x8
	s_wait_loadcnt_dscnt 0x0
	scratch_store_b128 off, v[2:5], off
	s_wait_kmcnt 0x0
	s_ashr_i32 s27, s26, 31
	s_delay_alu instid0(SALU_CYCLE_1) | instskip(NEXT) | instid1(SALU_CYCLE_1)
	s_lshl_b64 s[22:23], s[26:27], 2
	s_add_nc_u64 s[2:3], s[14:15], s[22:23]
	s_load_b32 s30, s[2:3], 0x0
	s_wait_kmcnt 0x0
	s_cmp_eq_u32 s30, -1
	s_cbranch_scc1 .LBB25_104
; %bb.8:
	s_add_nc_u64 s[2:3], s[8:9], s[22:23]
	s_load_b64 s[4:5], s[2:3], 0x0
	s_clause 0x1
	s_load_b64 s[28:29], s[0:1], 0x0
	s_load_b32 s25, s[0:1], 0x28
	s_wait_kmcnt 0x0
	s_sub_co_i32 s34, s4, s24
	s_sub_co_i32 s27, s5, s24
	s_cmp_ge_i32 s34, s30
	s_cbranch_scc1 .LBB25_93
; %bb.9:
	v_and_b32_e32 v19, 0x3ff, v0
	v_bfe_u32 v18, v0, 10, 10
	s_cmp_lg_u32 s28, 0
	s_mul_i32 s37, s25, s25
	s_cselect_b32 s35, -1, 0
	v_mad_u32 v3, s25, s34, v19
	v_dual_lshlrev_b32 v2, 5, v18 :: v_dual_add_nc_u32 v20, 1, v18
	v_cmp_gt_i32_e64 s0, s25, v19
	v_cmp_le_i32_e64 s1, s25, v19
	v_cmp_gt_i32_e64 s2, s25, v18
	s_delay_alu instid0(VALU_DEP_4)
	v_add3_u32 v12, v2, v19, s34
	v_lshlrev_b32_e32 v2, 4, v19
	v_cmp_eq_u32_e64 s3, 0, v18
	v_mul_u32_u24_e32 v22, 0x210, v18
	v_mad_u32_u24 v25, 0x210, v18, 0x210
	v_mul_lo_u32 v23, s25, v3
	v_ashrrev_i32_e32 v13, 31, v12
	v_mad_u32_u24 v21, 0x210, v18, v2
	v_cmp_gt_i32_e64 s4, s27, v12
	v_dual_mov_b32 v27, 0 :: v_dual_add_nc_u32 v26, 0x4200, v2
	s_delay_alu instid0(VALU_DEP_4) | instskip(NEXT) | instid1(VALU_DEP_4)
	v_lshl_add_u64 v[14:15], v[12:13], 2, s[10:11]
	v_add_nc_u32_e32 v13, 0x4200, v21
	v_add_nc_u32_e32 v24, 0x4410, v21
	s_cmp_gt_i32 s25, 0
	s_cselect_b32 s36, -1, 0
	s_add_co_i32 s29, s29, 1
	s_lshl_b32 s38, s25, 5
	s_branch .LBB25_12
.LBB25_10:                              ;   in Loop: Header=BB25_12 Depth=1
	s_mov_b32 s31, -1
.LBB25_11:                              ;   in Loop: Header=BB25_12 Depth=1
	s_add_co_i32 s34, s34, 1
	v_add_nc_u32_e32 v23, s37, v23
	s_cmp_lt_i32 s34, s30
	s_cselect_b32 s6, -1, 0
	s_delay_alu instid0(SALU_CYCLE_1) | instskip(NEXT) | instid1(SALU_CYCLE_1)
	s_and_b32 s5, s5, s6
	s_and_b32 vcc_lo, exec_lo, s5
	s_cbranch_vccz .LBB25_93
.LBB25_12:                              ; =>This Loop Header: Depth=1
                                        ;     Child Loop BB25_15 Depth 2
                                        ;       Child Loop BB25_18 Depth 3
                                        ;     Child Loop BB25_24 Depth 2
                                        ;     Child Loop BB25_28 Depth 2
                                        ;       Child Loop BB25_31 Depth 3
                                        ;     Child Loop BB25_38 Depth 2
                                        ;       Child Loop BB25_41 Depth 3
                                        ;         Child Loop BB25_45 Depth 4
                                        ;     Child Loop BB25_49 Depth 2
                                        ;       Child Loop BB25_52 Depth 3
                                        ;     Child Loop BB25_61 Depth 2
                                        ;       Child Loop BB25_66 Depth 3
                                        ;       Child Loop BB25_75 Depth 3
                                        ;         Child Loop BB25_78 Depth 4
                                        ;       Child Loop BB25_84 Depth 3
                                        ;         Child Loop BB25_87 Depth 4
                                        ;           Child Loop BB25_88 Depth 5
	s_wait_xcnt 0x0
	v_mov_b32_e32 v2, s34
	global_load_b32 v2, v2, s[10:11] scale_offset
	s_wait_loadcnt 0x0
	v_readfirstlane_b32 s5, v2
	s_wait_xcnt 0x0
	s_and_saveexec_b32 s6, s0
	s_cbranch_execz .LBB25_22
; %bb.13:                               ;   in Loop: Header=BB25_12 Depth=1
	v_dual_mov_b32 v2, v13 :: v_dual_mov_b32 v3, v23
	v_mov_b32_e32 v4, v19
	s_mul_i32 s7, s34, s25
	s_mov_b32 s39, 0
	s_branch .LBB25_15
.LBB25_14:                              ;   in Loop: Header=BB25_15 Depth=2
	s_or_b32 exec_lo, exec_lo, s40
	v_dual_add_nc_u32 v4, 32, v4 :: v_dual_add_nc_u32 v3, s38, v3
	v_add_nc_u32_e32 v2, 0x200, v2
	s_delay_alu instid0(VALU_DEP_2) | instskip(SKIP_1) | instid1(SALU_CYCLE_1)
	v_cmp_le_i32_e32 vcc_lo, s25, v4
	s_or_b32 s39, vcc_lo, s39
	s_and_not1_b32 exec_lo, exec_lo, s39
	s_cbranch_execz .LBB25_22
.LBB25_15:                              ;   Parent Loop BB25_12 Depth=1
                                        ; =>  This Loop Header: Depth=2
                                        ;       Child Loop BB25_18 Depth 3
	s_and_saveexec_b32 s40, s2
	s_cbranch_execz .LBB25_14
; %bb.16:                               ;   in Loop: Header=BB25_15 Depth=2
	v_dual_mov_b32 v5, v2 :: v_dual_mov_b32 v6, v18
	s_mov_b32 s41, 0
	s_branch .LBB25_18
.LBB25_17:                              ;   in Loop: Header=BB25_18 Depth=3
	global_load_b128 v[28:31], v7, s[12:13] scale_offset
	v_add_nc_u32_e32 v6, 2, v6
	s_delay_alu instid0(VALU_DEP_1)
	v_cmp_le_i32_e32 vcc_lo, s25, v6
	s_or_b32 s41, vcc_lo, s41
	s_wait_loadcnt 0x0
	ds_store_2addr_b64 v5, v[28:29], v[30:31] offset1:1
	v_add_nc_u32_e32 v5, 0x420, v5
	s_wait_xcnt 0x0
	s_and_not1_b32 exec_lo, exec_lo, s41
	s_cbranch_execz .LBB25_14
.LBB25_18:                              ;   Parent Loop BB25_12 Depth=1
                                        ;     Parent Loop BB25_15 Depth=2
                                        ; =>    This Inner Loop Header: Depth=3
	s_and_b32 vcc_lo, exec_lo, s35
	s_cbranch_vccz .LBB25_20
; %bb.19:                               ;   in Loop: Header=BB25_18 Depth=3
	v_add_nc_u32_e32 v7, s7, v6
	s_delay_alu instid0(VALU_DEP_1)
	v_mad_u32 v7, v7, s25, v4
	s_cbranch_execnz .LBB25_17
	s_branch .LBB25_21
.LBB25_20:                              ;   in Loop: Header=BB25_18 Depth=3
                                        ; implicit-def: $vgpr7
.LBB25_21:                              ;   in Loop: Header=BB25_18 Depth=3
	v_add_nc_u32_e32 v7, v3, v6
	s_branch .LBB25_17
.LBB25_22:                              ;   in Loop: Header=BB25_12 Depth=1
	s_or_b32 exec_lo, exec_lo, s6
	s_sub_co_i32 s6, s5, s24
	s_delay_alu instid0(SALU_CYCLE_1)
	v_mov_b32_e32 v2, s6
	global_load_b32 v2, v2, s[14:15] scale_offset
	s_wait_loadcnt 0x0
	v_cmp_eq_u32_e32 vcc_lo, -1, v2
	v_readfirstlane_b32 s39, v2
	v_cmp_ne_u32_e64 s5, -1, v2
	s_cbranch_vccnz .LBB25_10
; %bb.23:                               ;   in Loop: Header=BB25_12 Depth=1
	s_ashr_i32 s7, s6, 31
	s_delay_alu instid0(SALU_CYCLE_1) | instskip(NEXT) | instid1(SALU_CYCLE_1)
	s_lshl_b64 s[6:7], s[6:7], 2
	s_add_nc_u64 s[40:41], s[8:9], s[6:7]
	s_add_nc_u64 s[6:7], s[20:21], s[6:7]
	global_load_b32 v2, v27, s[40:41] offset:4
	s_wait_loadcnt 0x0
	s_wait_xcnt 0x0
	v_readfirstlane_b32 s40, v2
.LBB25_24:                              ;   Parent Loop BB25_12 Depth=1
                                        ; =>  This Inner Loop Header: Depth=2
	global_load_b32 v2, v27, s[6:7] scope:SCOPE_DEV
	s_wait_loadcnt 0x0
	v_cmp_eq_u32_e32 vcc_lo, 0, v2
	s_cbranch_vccnz .LBB25_24
; %bb.25:                               ;   in Loop: Header=BB25_12 Depth=1
	s_wait_storecnt_dscnt 0x0
	global_inv scope:SCOPE_DEV
	s_wait_xcnt 0x0
	s_and_saveexec_b32 s6, s0
	s_cbranch_execz .LBB25_35
; %bb.26:                               ;   in Loop: Header=BB25_12 Depth=1
	s_mul_i32 s7, s39, s25
	s_delay_alu instid0(SALU_CYCLE_1) | instskip(SKIP_2) | instid1(VALU_DEP_2)
	v_dual_mov_b32 v4, v19 :: v_dual_add_nc_u32 v2, s7, v19
	v_mov_b32_e32 v3, v21
	s_mov_b32 s41, 0
	v_mul_lo_u32 v2, s25, v2
	s_branch .LBB25_28
.LBB25_27:                              ;   in Loop: Header=BB25_28 Depth=2
	s_or_b32 exec_lo, exec_lo, s42
	s_delay_alu instid0(VALU_DEP_1) | instskip(SKIP_1) | instid1(VALU_DEP_2)
	v_dual_add_nc_u32 v4, 32, v4 :: v_dual_add_nc_u32 v2, s38, v2
	v_add_nc_u32_e32 v3, 0x200, v3
	v_cmp_le_i32_e32 vcc_lo, s25, v4
	s_or_b32 s41, vcc_lo, s41
	s_delay_alu instid0(SALU_CYCLE_1)
	s_and_not1_b32 exec_lo, exec_lo, s41
	s_cbranch_execz .LBB25_35
.LBB25_28:                              ;   Parent Loop BB25_12 Depth=1
                                        ; =>  This Loop Header: Depth=2
                                        ;       Child Loop BB25_31 Depth 3
	s_and_saveexec_b32 s42, s2
	s_cbranch_execz .LBB25_27
; %bb.29:                               ;   in Loop: Header=BB25_28 Depth=2
	v_dual_mov_b32 v5, v3 :: v_dual_mov_b32 v6, v18
	s_mov_b32 s43, 0
	s_branch .LBB25_31
.LBB25_30:                              ;   in Loop: Header=BB25_31 Depth=3
	global_load_b128 v[28:31], v7, s[12:13] scale_offset
	v_add_nc_u32_e32 v6, 2, v6
	s_delay_alu instid0(VALU_DEP_1)
	v_cmp_le_i32_e32 vcc_lo, s25, v6
	s_or_b32 s43, vcc_lo, s43
	s_wait_loadcnt 0x0
	ds_store_2addr_b64 v5, v[28:29], v[30:31] offset1:1
	v_add_nc_u32_e32 v5, 0x420, v5
	s_wait_xcnt 0x0
	s_and_not1_b32 exec_lo, exec_lo, s43
	s_cbranch_execz .LBB25_27
.LBB25_31:                              ;   Parent Loop BB25_12 Depth=1
                                        ;     Parent Loop BB25_28 Depth=2
                                        ; =>    This Inner Loop Header: Depth=3
	s_and_b32 vcc_lo, exec_lo, s35
	s_cbranch_vccz .LBB25_33
; %bb.32:                               ;   in Loop: Header=BB25_31 Depth=3
	v_add_nc_u32_e32 v7, s7, v6
	s_delay_alu instid0(VALU_DEP_1)
	v_mad_u32 v7, v7, s25, v4
	s_cbranch_execnz .LBB25_30
	s_branch .LBB25_34
.LBB25_33:                              ;   in Loop: Header=BB25_31 Depth=3
                                        ; implicit-def: $vgpr7
.LBB25_34:                              ;   in Loop: Header=BB25_31 Depth=3
	s_delay_alu instid0(VALU_DEP_2)
	v_add_nc_u32_e32 v7, v2, v6
	s_branch .LBB25_30
.LBB25_35:                              ;   in Loop: Header=BB25_12 Depth=1
	s_or_b32 exec_lo, exec_lo, s6
	s_delay_alu instid0(SALU_CYCLE_1)
	s_and_not1_b32 vcc_lo, exec_lo, s36
	s_wait_loadcnt_dscnt 0x0
	s_cbranch_vccnz .LBB25_46
; %bb.36:                               ;   in Loop: Header=BB25_12 Depth=1
	v_dual_mov_b32 v28, v25 :: v_dual_mov_b32 v29, v24
	s_mov_b32 s7, 0
	s_branch .LBB25_38
.LBB25_37:                              ;   in Loop: Header=BB25_38 Depth=2
	s_or_b32 exec_lo, exec_lo, s41
	v_add_nc_u32_e32 v29, 0x210, v29
	v_add_nc_u32_e32 v28, 0x220, v28
	s_add_co_i32 s7, s7, 1
	s_wait_dscnt 0x0
	s_cmp_eq_u32 s7, s25
	s_cbranch_scc1 .LBB25_46
.LBB25_38:                              ;   Parent Loop BB25_12 Depth=1
                                        ; =>  This Loop Header: Depth=2
                                        ;       Child Loop BB25_41 Depth 3
                                        ;         Child Loop BB25_45 Depth 4
	s_and_saveexec_b32 s41, s0
	s_cbranch_execz .LBB25_37
; %bb.39:                               ;   in Loop: Header=BB25_38 Depth=2
	s_mul_i32 s42, s7, 0x210
	s_lshl_b32 s6, s7, 4
	s_mov_b32 s43, 0
	s_add_co_i32 s6, s42, s6
	s_addk_co_i32 s42, 0x4200
	v_mov_b32_e32 v2, s6
	ds_load_b128 v[2:5], v2
	s_wait_dscnt 0x0
	v_mul_f64_e32 v[6:7], v[4:5], v[4:5]
	s_delay_alu instid0(VALU_DEP_1) | instskip(NEXT) | instid1(VALU_DEP_1)
	v_fmac_f64_e32 v[6:7], v[2:3], v[2:3]
	v_div_scale_f64 v[8:9], null, v[6:7], v[6:7], 1.0
	s_delay_alu instid0(VALU_DEP_1) | instskip(SKIP_1) | instid1(TRANS32_DEP_1)
	v_rcp_f64_e32 v[16:17], v[8:9]
	v_nop
	v_fma_f64 v[30:31], -v[8:9], v[16:17], 1.0
	s_delay_alu instid0(VALU_DEP_1) | instskip(NEXT) | instid1(VALU_DEP_1)
	v_fmac_f64_e32 v[16:17], v[16:17], v[30:31]
	v_fma_f64 v[30:31], -v[8:9], v[16:17], 1.0
	s_delay_alu instid0(VALU_DEP_1) | instskip(SKIP_1) | instid1(VALU_DEP_1)
	v_fmac_f64_e32 v[16:17], v[16:17], v[30:31]
	v_div_scale_f64 v[30:31], vcc_lo, 1.0, v[6:7], 1.0
	v_mul_f64_e32 v[32:33], v[30:31], v[16:17]
	s_delay_alu instid0(VALU_DEP_1) | instskip(SKIP_1) | instid1(VALU_DEP_2)
	v_fma_f64 v[8:9], -v[8:9], v[32:33], v[30:31]
	v_dual_mov_b32 v31, v29 :: v_dual_add_nc_u32 v30, s7, v20
	v_div_fmas_f64 v[8:9], v[8:9], v[16:17], v[32:33]
	v_mov_b32_e32 v32, v19
	s_delay_alu instid0(VALU_DEP_3) | instskip(NEXT) | instid1(VALU_DEP_3)
	v_cmp_gt_i32_e32 vcc_lo, s25, v30
	v_div_fixup_f64 v[16:17], v[8:9], v[6:7], 1.0
	s_branch .LBB25_41
.LBB25_40:                              ;   in Loop: Header=BB25_41 Depth=3
	s_or_b32 exec_lo, exec_lo, s44
	v_add_nc_u32_e32 v32, 32, v32
	v_add_nc_u32_e32 v31, 0x200, v31
	s_delay_alu instid0(VALU_DEP_2) | instskip(SKIP_1) | instid1(SALU_CYCLE_1)
	v_cmp_le_i32_e64 s6, s25, v32
	s_or_b32 s43, s6, s43
	s_and_not1_b32 exec_lo, exec_lo, s43
	s_cbranch_execz .LBB25_37
.LBB25_41:                              ;   Parent Loop BB25_12 Depth=1
                                        ;     Parent Loop BB25_38 Depth=2
                                        ; =>    This Loop Header: Depth=3
                                        ;         Child Loop BB25_45 Depth 4
	s_delay_alu instid0(VALU_DEP_3) | instskip(SKIP_4) | instid1(VALU_DEP_2)
	v_lshl_add_u32 v33, v32, 4, s42
	ds_load_b128 v[6:9], v33
	s_wait_dscnt 0x0
	v_mul_f64_e32 v[34:35], v[4:5], v[8:9]
	v_mul_f64_e64 v[36:37], v[4:5], -v[6:7]
	v_fmac_f64_e32 v[34:35], v[6:7], v[2:3]
	s_delay_alu instid0(VALU_DEP_2) | instskip(NEXT) | instid1(VALU_DEP_2)
	v_fmac_f64_e32 v[36:37], v[8:9], v[2:3]
	v_mul_f64_e32 v[6:7], v[16:17], v[34:35]
	s_delay_alu instid0(VALU_DEP_2)
	v_mul_f64_e32 v[8:9], v[16:17], v[36:37]
	s_and_saveexec_b32 s6, s3
; %bb.42:                               ;   in Loop: Header=BB25_41 Depth=3
	ds_store_b128 v33, v[6:9]
; %bb.43:                               ;   in Loop: Header=BB25_41 Depth=3
	s_or_b32 exec_lo, exec_lo, s6
	s_and_saveexec_b32 s44, vcc_lo
	s_cbranch_execz .LBB25_40
; %bb.44:                               ;   in Loop: Header=BB25_41 Depth=3
	v_dual_mov_b32 v33, v28 :: v_dual_mov_b32 v34, v31
	v_mov_b32_e32 v35, v30
	s_mov_b32 s45, 0
.LBB25_45:                              ;   Parent Loop BB25_12 Depth=1
                                        ;     Parent Loop BB25_38 Depth=2
                                        ;       Parent Loop BB25_41 Depth=3
                                        ; =>      This Inner Loop Header: Depth=4
	ds_load_b128 v[36:39], v33
	ds_load_b128 v[40:43], v34
	v_add_nc_u32_e32 v33, 0x420, v33
	v_add_nc_u32_e32 v35, 2, v35
	s_delay_alu instid0(VALU_DEP_1) | instskip(SKIP_4) | instid1(VALU_DEP_2)
	v_cmp_le_i32_e64 s6, s25, v35
	s_or_b32 s45, s6, s45
	s_wait_dscnt 0x0
	v_fma_f64 v[40:41], -v[6:7], v[36:37], v[40:41]
	v_fma_f64 v[36:37], -v[8:9], v[36:37], v[42:43]
	v_fmac_f64_e32 v[40:41], v[8:9], v[38:39]
	s_delay_alu instid0(VALU_DEP_2)
	v_fma_f64 v[42:43], -v[6:7], v[38:39], v[36:37]
	ds_store_b128 v34, v[40:43]
	v_add_nc_u32_e32 v34, 0x420, v34
	s_and_not1_b32 exec_lo, exec_lo, s45
	s_cbranch_execnz .LBB25_45
	s_branch .LBB25_40
.LBB25_46:                              ;   in Loop: Header=BB25_12 Depth=1
	s_and_saveexec_b32 s6, s0
	s_cbranch_execz .LBB25_56
; %bb.47:                               ;   in Loop: Header=BB25_12 Depth=1
	v_dual_mov_b32 v2, v13 :: v_dual_mov_b32 v3, v23
	v_mov_b32_e32 v4, v19
	s_mul_i32 s7, s34, s25
	s_mov_b32 s41, 0
	s_branch .LBB25_49
.LBB25_48:                              ;   in Loop: Header=BB25_49 Depth=2
	s_or_b32 exec_lo, exec_lo, s42
	v_dual_add_nc_u32 v4, 32, v4 :: v_dual_add_nc_u32 v3, s38, v3
	v_add_nc_u32_e32 v2, 0x200, v2
	s_delay_alu instid0(VALU_DEP_2) | instskip(SKIP_1) | instid1(SALU_CYCLE_1)
	v_cmp_le_i32_e32 vcc_lo, s25, v4
	s_or_b32 s41, vcc_lo, s41
	s_and_not1_b32 exec_lo, exec_lo, s41
	s_cbranch_execz .LBB25_56
.LBB25_49:                              ;   Parent Loop BB25_12 Depth=1
                                        ; =>  This Loop Header: Depth=2
                                        ;       Child Loop BB25_52 Depth 3
	s_and_saveexec_b32 s42, s2
	s_cbranch_execz .LBB25_48
; %bb.50:                               ;   in Loop: Header=BB25_49 Depth=2
	v_dual_mov_b32 v5, v2 :: v_dual_mov_b32 v6, v18
	s_mov_b32 s43, 0
	s_branch .LBB25_52
.LBB25_51:                              ;   in Loop: Header=BB25_52 Depth=3
	ds_load_2addr_b64 v[28:31], v5 offset1:1
	v_add_nc_u32_e32 v6, 2, v6
	v_add_nc_u32_e32 v5, 0x420, v5
	s_delay_alu instid0(VALU_DEP_2)
	v_cmp_le_i32_e32 vcc_lo, s25, v6
	s_or_b32 s43, vcc_lo, s43
	s_wait_dscnt 0x0
	global_store_b128 v7, v[28:31], s[12:13] scale_offset
	s_wait_xcnt 0x0
	s_and_not1_b32 exec_lo, exec_lo, s43
	s_cbranch_execz .LBB25_48
.LBB25_52:                              ;   Parent Loop BB25_12 Depth=1
                                        ;     Parent Loop BB25_49 Depth=2
                                        ; =>    This Inner Loop Header: Depth=3
	s_and_b32 vcc_lo, exec_lo, s35
	s_cbranch_vccz .LBB25_54
; %bb.53:                               ;   in Loop: Header=BB25_52 Depth=3
	v_add_nc_u32_e32 v7, s7, v6
	s_delay_alu instid0(VALU_DEP_1)
	v_mad_u32 v7, v7, s25, v4
	s_cbranch_execnz .LBB25_51
	s_branch .LBB25_55
.LBB25_54:                              ;   in Loop: Header=BB25_52 Depth=3
                                        ; implicit-def: $vgpr7
.LBB25_55:                              ;   in Loop: Header=BB25_52 Depth=3
	v_add_nc_u32_e32 v7, v3, v6
	s_branch .LBB25_51
.LBB25_56:                              ;   in Loop: Header=BB25_12 Depth=1
	s_or_b32 exec_lo, exec_lo, s6
	s_sub_co_i32 s6, s40, s24
	s_add_co_i32 s7, s39, 1
	s_delay_alu instid0(SALU_CYCLE_1)
	s_cmp_ge_i32 s7, s6
	s_cbranch_scc1 .LBB25_11
; %bb.57:                               ;   in Loop: Header=BB25_12 Depth=1
	v_mad_u32 v2, s25, s7, v19
	s_delay_alu instid0(VALU_DEP_1)
	v_mul_lo_u32 v6, s25, v2
	s_branch .LBB25_61
.LBB25_58:                              ;   in Loop: Header=BB25_61 Depth=2
	s_or_b32 exec_lo, exec_lo, s40
.LBB25_59:                              ;   in Loop: Header=BB25_61 Depth=2
	s_delay_alu instid0(SALU_CYCLE_1)
	s_or_b32 exec_lo, exec_lo, s39
.LBB25_60:                              ;   in Loop: Header=BB25_61 Depth=2
	v_add_nc_u32_e32 v6, s37, v6
	s_add_co_i32 s7, s7, 1
	s_wait_storecnt_dscnt 0x0
	s_cmp_lt_i32 s7, s6
	s_cbranch_scc0 .LBB25_11
.LBB25_61:                              ;   Parent Loop BB25_12 Depth=1
                                        ; =>  This Loop Header: Depth=2
                                        ;       Child Loop BB25_66 Depth 3
                                        ;       Child Loop BB25_75 Depth 3
                                        ;         Child Loop BB25_78 Depth 4
                                        ;       Child Loop BB25_84 Depth 3
                                        ;         Child Loop BB25_87 Depth 4
                                        ;           Child Loop BB25_88 Depth 5
	v_dual_mov_b32 v2, s7 :: v_dual_mov_b32 v3, s29
	global_load_b32 v2, v2, s[10:11] scale_offset
	s_wait_xcnt 0x0
	s_and_saveexec_b32 s39, s4
	s_cbranch_execz .LBB25_63
; %bb.62:                               ;   in Loop: Header=BB25_61 Depth=2
	global_load_b32 v3, v[14:15], off
	s_wait_loadcnt 0x0
	v_subrev_nc_u32_e32 v3, s24, v3
.LBB25_63:                              ;   in Loop: Header=BB25_61 Depth=2
	s_wait_xcnt 0x0
	s_or_b32 exec_lo, exec_lo, s39
	s_wait_loadcnt 0x0
	v_subrev_nc_u32_e32 v2, s24, v2
	v_mov_b32_e32 v4, v12
	s_mov_b32 s39, exec_lo
	s_delay_alu instid0(VALU_DEP_2)
	v_cmpx_lt_i32_e64 v3, v2
	s_cbranch_execz .LBB25_69
; %bb.64:                               ;   in Loop: Header=BB25_61 Depth=2
	v_mov_b32_e32 v5, v12
	s_mov_b32 s40, 0
	s_branch .LBB25_66
.LBB25_65:                              ;   in Loop: Header=BB25_66 Depth=3
	s_wait_xcnt 0x0
	s_or_b32 exec_lo, exec_lo, s41
	s_delay_alu instid0(VALU_DEP_1) | instskip(SKIP_2) | instid1(SALU_CYCLE_1)
	v_cmp_ge_i32_e32 vcc_lo, v3, v2
	v_mov_b32_e32 v5, v4
	s_or_b32 s40, vcc_lo, s40
	s_and_not1_b32 exec_lo, exec_lo, s40
	s_cbranch_execz .LBB25_68
.LBB25_66:                              ;   Parent Loop BB25_12 Depth=1
                                        ;     Parent Loop BB25_61 Depth=2
                                        ; =>    This Inner Loop Header: Depth=3
	s_delay_alu instid0(VALU_DEP_1) | instskip(SKIP_1) | instid1(VALU_DEP_1)
	v_dual_mov_b32 v3, s29 :: v_dual_add_nc_u32 v4, 64, v5
	s_mov_b32 s41, exec_lo
	v_cmpx_gt_i32_e64 s27, v4
	s_cbranch_execz .LBB25_65
; %bb.67:                               ;   in Loop: Header=BB25_66 Depth=3
	global_load_b32 v3, v5, s[10:11] offset:256 scale_offset
	s_wait_loadcnt 0x0
	v_subrev_nc_u32_e32 v3, s24, v3
	s_branch .LBB25_65
.LBB25_68:                              ;   in Loop: Header=BB25_61 Depth=2
	s_or_b32 exec_lo, exec_lo, s40
.LBB25_69:                              ;   in Loop: Header=BB25_61 Depth=2
	s_delay_alu instid0(SALU_CYCLE_1)
	s_or_b32 exec_lo, exec_lo, s39
	v_cmp_eq_u32_e32 vcc_lo, v3, v2
	s_cbranch_vccz .LBB25_60
; %bb.70:                               ;   in Loop: Header=BB25_61 Depth=2
	s_ctz_i32_b32 s39, vcc_lo
	s_delay_alu instid0(SALU_CYCLE_1) | instskip(NEXT) | instid1(SALU_CYCLE_1)
	s_lshl_b32 s39, s39, 2
	v_mov_b32_e32 v2, s39
	ds_bpermute_b32 v2, v2, v4
	s_and_saveexec_b32 s39, s1
	s_delay_alu instid0(SALU_CYCLE_1)
	s_xor_b32 s39, exec_lo, s39
	s_cbranch_execz .LBB25_72
; %bb.71:                               ;   in Loop: Header=BB25_61 Depth=2
                                        ; implicit-def: $vgpr2
	s_wait_storecnt_dscnt 0x0
.LBB25_72:                              ;   in Loop: Header=BB25_61 Depth=2
	s_and_not1_saveexec_b32 s39, s39
	s_cbranch_execz .LBB25_59
; %bb.73:                               ;   in Loop: Header=BB25_61 Depth=2
	v_dual_mov_b32 v3, v21 :: v_dual_mov_b32 v4, v6
	v_mov_b32_e32 v5, v19
	s_mul_i32 s41, s7, s25
	s_mov_b32 s40, 0
	s_branch .LBB25_75
.LBB25_74:                              ;   in Loop: Header=BB25_75 Depth=3
	s_or_b32 exec_lo, exec_lo, s42
	v_dual_add_nc_u32 v5, 32, v5 :: v_dual_add_nc_u32 v4, s38, v4
	v_add_nc_u32_e32 v3, 0x200, v3
	s_delay_alu instid0(VALU_DEP_2) | instskip(SKIP_1) | instid1(SALU_CYCLE_1)
	v_cmp_le_i32_e32 vcc_lo, s25, v5
	s_or_b32 s40, vcc_lo, s40
	s_and_not1_b32 exec_lo, exec_lo, s40
	s_cbranch_execz .LBB25_82
.LBB25_75:                              ;   Parent Loop BB25_12 Depth=1
                                        ;     Parent Loop BB25_61 Depth=2
                                        ; =>    This Loop Header: Depth=3
                                        ;         Child Loop BB25_78 Depth 4
	s_and_saveexec_b32 s42, s2
	s_cbranch_execz .LBB25_74
; %bb.76:                               ;   in Loop: Header=BB25_75 Depth=3
	v_dual_mov_b32 v7, v3 :: v_dual_mov_b32 v8, v18
	s_mov_b32 s43, 0
	s_branch .LBB25_78
.LBB25_77:                              ;   in Loop: Header=BB25_78 Depth=4
	global_load_b128 v[28:31], v9, s[12:13] scale_offset
	v_add_nc_u32_e32 v8, 2, v8
	s_delay_alu instid0(VALU_DEP_1)
	v_cmp_le_i32_e32 vcc_lo, s25, v8
	s_or_b32 s43, vcc_lo, s43
	s_wait_loadcnt 0x0
	ds_store_2addr_b64 v7, v[28:29], v[30:31] offset1:1
	v_add_nc_u32_e32 v7, 0x420, v7
	s_wait_xcnt 0x0
	s_and_not1_b32 exec_lo, exec_lo, s43
	s_cbranch_execz .LBB25_74
.LBB25_78:                              ;   Parent Loop BB25_12 Depth=1
                                        ;     Parent Loop BB25_61 Depth=2
                                        ;       Parent Loop BB25_75 Depth=3
                                        ; =>      This Inner Loop Header: Depth=4
	s_and_b32 vcc_lo, exec_lo, s35
	s_cbranch_vccz .LBB25_80
; %bb.79:                               ;   in Loop: Header=BB25_78 Depth=4
	v_add_nc_u32_e32 v9, s41, v8
	s_delay_alu instid0(VALU_DEP_1)
	v_mad_u32 v9, v9, s25, v5
	s_cbranch_execnz .LBB25_77
	s_branch .LBB25_81
.LBB25_80:                              ;   in Loop: Header=BB25_78 Depth=4
                                        ; implicit-def: $vgpr9
.LBB25_81:                              ;   in Loop: Header=BB25_78 Depth=4
	v_add_nc_u32_e32 v9, v4, v8
	s_branch .LBB25_77
.LBB25_82:                              ;   in Loop: Header=BB25_61 Depth=2
	s_or_b32 exec_lo, exec_lo, s40
	s_wait_dscnt 0x0
	v_mul_lo_u32 v7, v2, s25
	v_dual_mov_b32 v8, v26 :: v_dual_mov_b32 v9, v19
	s_mov_b32 s40, 0
	s_wait_storecnt 0x0
	s_branch .LBB25_84
.LBB25_83:                              ;   in Loop: Header=BB25_84 Depth=3
	s_or_b32 exec_lo, exec_lo, s41
	v_add_nc_u32_e32 v9, 32, v9
	v_add_nc_u32_e32 v8, 0x200, v8
	s_delay_alu instid0(VALU_DEP_2) | instskip(SKIP_1) | instid1(SALU_CYCLE_1)
	v_cmp_le_i32_e32 vcc_lo, s25, v9
	s_or_b32 s40, vcc_lo, s40
	s_and_not1_b32 exec_lo, exec_lo, s40
	s_cbranch_execz .LBB25_58
.LBB25_84:                              ;   Parent Loop BB25_12 Depth=1
                                        ;     Parent Loop BB25_61 Depth=2
                                        ; =>    This Loop Header: Depth=3
                                        ;         Child Loop BB25_87 Depth 4
                                        ;           Child Loop BB25_88 Depth 5
	s_and_saveexec_b32 s41, s2
	s_cbranch_execz .LBB25_83
; %bb.85:                               ;   in Loop: Header=BB25_84 Depth=3
	s_delay_alu instid0(VALU_DEP_2) | instskip(SKIP_2) | instid1(VALU_DEP_2)
	v_dual_mov_b32 v17, v22 :: v_dual_add_nc_u32 v2, v9, v7
	v_mov_b32_e32 v28, v18
	s_mov_b32 s42, 0
	v_mul_lo_u32 v16, v2, s25
	s_branch .LBB25_87
.LBB25_86:                              ;   in Loop: Header=BB25_87 Depth=4
	global_load_b128 v[30:33], v29, s[12:13] scale_offset
	v_add_nc_u32_e32 v17, 0x420, v17
	v_add_nc_u32_e32 v28, 2, v28
	s_delay_alu instid0(VALU_DEP_1)
	v_cmp_le_i32_e32 vcc_lo, s25, v28
	s_or_b32 s42, vcc_lo, s42
	s_wait_loadcnt 0x0
	v_add_f64_e64 v[2:3], v[30:31], -v[2:3]
	v_add_f64_e64 v[4:5], v[32:33], -v[4:5]
	global_store_b128 v29, v[2:5], s[12:13] scale_offset
	s_wait_xcnt 0x0
	s_and_not1_b32 exec_lo, exec_lo, s42
	s_cbranch_execz .LBB25_83
.LBB25_87:                              ;   Parent Loop BB25_12 Depth=1
                                        ;     Parent Loop BB25_61 Depth=2
                                        ;       Parent Loop BB25_84 Depth=3
                                        ; =>      This Loop Header: Depth=4
                                        ;           Child Loop BB25_88 Depth 5
	v_mov_b64_e32 v[2:3], 0
	v_mov_b64_e32 v[4:5], 0
	v_dual_mov_b32 v29, v8 :: v_dual_mov_b32 v30, v17
	s_mov_b32 s43, s25
.LBB25_88:                              ;   Parent Loop BB25_12 Depth=1
                                        ;     Parent Loop BB25_61 Depth=2
                                        ;       Parent Loop BB25_84 Depth=3
                                        ;         Parent Loop BB25_87 Depth=4
                                        ; =>        This Inner Loop Header: Depth=5
	ds_load_b128 v[32:35], v29
	ds_load_b128 v[36:39], v30
	v_add_nc_u32_e32 v30, 16, v30
	v_add_nc_u32_e32 v29, 0x210, v29
	s_add_co_i32 s43, s43, -1
	s_delay_alu instid0(SALU_CYCLE_1) | instskip(SKIP_3) | instid1(VALU_DEP_2)
	s_cmp_eq_u32 s43, 0
	s_wait_dscnt 0x0
	v_fmac_f64_e32 v[2:3], v[32:33], v[36:37]
	v_fmac_f64_e32 v[4:5], v[34:35], v[36:37]
	v_fma_f64 v[2:3], -v[34:35], v[38:39], v[2:3]
	s_delay_alu instid0(VALU_DEP_2)
	v_fmac_f64_e32 v[4:5], v[32:33], v[38:39]
	s_cbranch_scc0 .LBB25_88
; %bb.89:                               ;   in Loop: Header=BB25_87 Depth=4
	s_and_b32 vcc_lo, exec_lo, s35
	s_cbranch_vccz .LBB25_91
; %bb.90:                               ;   in Loop: Header=BB25_87 Depth=4
	v_add_nc_u32_e32 v29, v28, v7
	s_delay_alu instid0(VALU_DEP_1)
	v_mad_u32 v29, v29, s25, v9
	s_cbranch_execnz .LBB25_86
	s_branch .LBB25_92
.LBB25_91:                              ;   in Loop: Header=BB25_87 Depth=4
                                        ; implicit-def: $vgpr29
.LBB25_92:                              ;   in Loop: Header=BB25_87 Depth=4
	v_add_nc_u32_e32 v29, v28, v16
	s_branch .LBB25_86
.LBB25_93:
	s_wait_xcnt 0x0
	v_mov_b32_e32 v2, s30
	global_load_b32 v2, v2, s[10:11] scale_offset
	s_wait_loadcnt 0x0
	v_subrev_nc_u32_e32 v2, s24, v2
	s_delay_alu instid0(VALU_DEP_1)
	v_cmp_ne_u32_e32 vcc_lo, s26, v2
	s_cbranch_vccnz .LBB25_105
; %bb.94:
	v_and_b32_e32 v14, 0x3ff, v0
	s_delay_alu instid0(VALU_DEP_1)
	v_cmp_gt_i32_e64 s0, s25, v14
	v_lshlrev_b32_e32 v15, 4, v14
	s_and_saveexec_b32 s2, s0
	s_cbranch_execz .LBB25_106
; %bb.95:
	s_mul_i32 s3, s30, s25
	v_bfe_u32 v2, v0, 10, 10
	v_dual_add_nc_u32 v3, s3, v14 :: v_dual_mov_b32 v5, v14
	s_cmp_lg_u32 s28, 0
	s_mov_b32 s4, 0
	s_delay_alu instid0(VALU_DEP_2) | instskip(NEXT) | instid1(VALU_DEP_2)
	v_cmp_gt_u32_e64 s1, s25, v2
	v_mul_lo_u32 v3, s25, v3
	v_mad_u32_u24 v4, 0x210, v2, v15
	s_cselect_b32 s5, -1, 0
	s_lshl_b32 s6, s25, 5
	s_branch .LBB25_97
.LBB25_96:                              ;   in Loop: Header=BB25_97 Depth=1
	s_or_b32 exec_lo, exec_lo, s7
	s_delay_alu instid0(VALU_DEP_2) | instskip(SKIP_1) | instid1(VALU_DEP_2)
	v_dual_add_nc_u32 v5, 32, v5 :: v_dual_add_nc_u32 v3, s6, v3
	v_add_nc_u32_e32 v4, 0x200, v4
	v_cmp_le_i32_e32 vcc_lo, s25, v5
	s_or_b32 s4, vcc_lo, s4
	s_delay_alu instid0(SALU_CYCLE_1)
	s_and_not1_b32 exec_lo, exec_lo, s4
	s_cbranch_execz .LBB25_106
.LBB25_97:                              ; =>This Loop Header: Depth=1
                                        ;     Child Loop BB25_100 Depth 2
	s_and_saveexec_b32 s7, s1
	s_cbranch_execz .LBB25_96
; %bb.98:                               ;   in Loop: Header=BB25_97 Depth=1
	v_dual_mov_b32 v6, v4 :: v_dual_mov_b32 v7, v2
	s_mov_b32 s8, 0
	s_branch .LBB25_100
.LBB25_99:                              ;   in Loop: Header=BB25_100 Depth=2
	global_load_b128 v[16:19], v8, s[12:13] scale_offset
	v_add_nc_u32_e32 v7, 2, v7
	s_delay_alu instid0(VALU_DEP_1)
	v_cmp_le_i32_e32 vcc_lo, s25, v7
	s_or_b32 s8, vcc_lo, s8
	s_wait_loadcnt 0x0
	ds_store_2addr_b64 v6, v[16:17], v[18:19] offset1:1
	v_add_nc_u32_e32 v6, 0x420, v6
	s_wait_xcnt 0x0
	s_and_not1_b32 exec_lo, exec_lo, s8
	s_cbranch_execz .LBB25_96
.LBB25_100:                             ;   Parent Loop BB25_97 Depth=1
                                        ; =>  This Inner Loop Header: Depth=2
	s_and_b32 vcc_lo, exec_lo, s5
	s_cbranch_vccz .LBB25_102
; %bb.101:                              ;   in Loop: Header=BB25_100 Depth=2
	v_add_nc_u32_e32 v8, s3, v7
	s_delay_alu instid0(VALU_DEP_1)
	v_mad_u32 v8, v8, s25, v5
	s_cbranch_execnz .LBB25_99
	s_branch .LBB25_103
.LBB25_102:                             ;   in Loop: Header=BB25_100 Depth=2
                                        ; implicit-def: $vgpr8
.LBB25_103:                             ;   in Loop: Header=BB25_100 Depth=2
	v_add_nc_u32_e32 v8, v3, v7
	s_branch .LBB25_99
.LBB25_104:
	s_mov_b32 s4, -1
	s_branch .LBB25_196
.LBB25_105:
	s_mov_b32 s4, s31
	s_add_co_i32 s5, s30, 1
	s_delay_alu instid0(SALU_CYCLE_1)
	s_cmp_ge_i32 s5, s27
	s_cbranch_scc0 .LBB25_145
	s_branch .LBB25_196
.LBB25_106:
	s_or_b32 exec_lo, exec_lo, s2
	s_cmp_lt_i32 s25, 1
	s_wait_storecnt_dscnt 0x0
	s_cbranch_scc1 .LBB25_134
; %bb.107:
	v_cvt_f64_f32_e32 v[2:3], s33
	v_bfe_u32 v16, v0, 10, 10
	s_cmp_eq_u64 s[16:17], 8
	v_mov_b32_e32 v19, 0
	s_cselect_b32 vcc_lo, -1, 0
	s_delay_alu instid0(VALU_DEP_2)
	v_dual_mov_b32 v20, 0 :: v_dual_bitop2_b32 v4, v14, v16 bitop3:0x54
	v_mul_u32_u24_e32 v5, 0x210, v16
	v_cmp_eq_u32_e64 s1, 0, v16
	v_mad_u32_u24 v17, 0x210, v16, 0x210
	s_mov_b32 s5, 0
	v_cmp_eq_u32_e64 s2, 0, v4
	v_add3_u32 v18, v5, v15, 0x220
                                        ; implicit-def: $sgpr4
	v_dual_cndmask_b32 v7, v3, v11 :: v_dual_cndmask_b32 v6, v2, v10
	s_branch .LBB25_109
.LBB25_108:                             ;   in Loop: Header=BB25_109 Depth=1
	s_or_b32 exec_lo, exec_lo, s3
	s_delay_alu instid0(VALU_DEP_1)
	v_cmp_eq_u32_e32 vcc_lo, s25, v8
	v_add_nc_u32_e32 v18, 0x220, v18
	v_dual_mov_b32 v20, v8 :: v_dual_add_nc_u32 v17, 0x220, v17
	s_or_b32 s5, vcc_lo, s5
	s_and_not1_b32 s3, s4, exec_lo
	s_and_b32 s4, s31, exec_lo
	s_delay_alu instid0(SALU_CYCLE_1)
	s_or_b32 s4, s3, s4
	s_and_not1_b32 exec_lo, exec_lo, s5
	s_cbranch_execz .LBB25_133
.LBB25_109:                             ; =>This Loop Header: Depth=1
                                        ;     Child Loop BB25_126 Depth 2
                                        ;       Child Loop BB25_130 Depth 3
	v_mul_lo_u32 v21, 0x210, v20
	v_cmp_ne_u32_e32 vcc_lo, 1, v1
	s_mov_b32 s3, -1
	s_mov_b32 s7, 0
	s_and_b32 vcc_lo, exec_lo, vcc_lo
	s_delay_alu instid0(VALU_DEP_2)
	v_lshl_add_u32 v22, v20, 4, v21
	ds_load_2addr_b64 v[2:5], v22 offset1:1
	s_wait_dscnt 0x0
	scratch_store_b128 off, v[2:5], off offset:16
	s_cbranch_vccz .LBB25_113
; %bb.110:                              ;   in Loop: Header=BB25_109 Depth=1
	s_and_b32 vcc_lo, exec_lo, s3
	s_mov_b32 s6, 0
	s_cbranch_vccnz .LBB25_122
.LBB25_111:                             ;   in Loop: Header=BB25_109 Depth=1
                                        ; implicit-def: $vgpr8
	s_wait_xcnt 0x0
	s_and_saveexec_b32 s3, s7
	s_delay_alu instid0(SALU_CYCLE_1)
	s_xor_b32 s7, exec_lo, s3
	s_cbranch_execnz .LBB25_123
.LBB25_112:                             ;   in Loop: Header=BB25_109 Depth=1
	s_or_b32 exec_lo, exec_lo, s7
	s_and_saveexec_b32 s3, s6
	s_cbranch_execz .LBB25_108
	s_branch .LBB25_132
.LBB25_113:                             ;   in Loop: Header=BB25_109 Depth=1
	v_cmp_gt_f64_e32 vcc_lo, 0, v[2:3]
	v_xor_b32_e32 v9, 0x80000000, v3
	v_mov_b32_e32 v8, v2
	v_xor_b32_e32 v10, 0x80000000, v5
	s_mov_b32 s3, exec_lo
                                        ; implicit-def: $vgpr12_vgpr13
	s_delay_alu instid0(VALU_DEP_3) | instskip(SKIP_1) | instid1(VALU_DEP_3)
	v_cndmask_b32_e32 v9, v3, v9, vcc_lo
	v_cmp_gt_f64_e32 vcc_lo, 0, v[4:5]
	v_dual_cndmask_b32 v11, v5, v10 :: v_dual_mov_b32 v10, v4
	s_wait_xcnt 0x0
	s_delay_alu instid0(VALU_DEP_1)
	v_cmpx_ngt_f64_e32 v[8:9], v[10:11]
	s_xor_b32 s3, exec_lo, s3
	s_cbranch_execz .LBB25_117
; %bb.114:                              ;   in Loop: Header=BB25_109 Depth=1
	v_mov_b64_e32 v[12:13], 0
	s_mov_b32 s6, exec_lo
	v_cmpx_neq_f64_e32 0, v[4:5]
	s_cbranch_execz .LBB25_116
; %bb.115:                              ;   in Loop: Header=BB25_109 Depth=1
	v_div_scale_f64 v[12:13], null, v[10:11], v[10:11], v[8:9]
	v_div_scale_f64 v[28:29], vcc_lo, v[8:9], v[10:11], v[8:9]
	s_delay_alu instid0(VALU_DEP_2) | instskip(SKIP_1) | instid1(TRANS32_DEP_1)
	v_rcp_f64_e32 v[24:25], v[12:13]
	v_nop
	v_fma_f64 v[26:27], -v[12:13], v[24:25], 1.0
	s_delay_alu instid0(VALU_DEP_1) | instskip(NEXT) | instid1(VALU_DEP_1)
	v_fmac_f64_e32 v[24:25], v[24:25], v[26:27]
	v_fma_f64 v[26:27], -v[12:13], v[24:25], 1.0
	s_delay_alu instid0(VALU_DEP_1) | instskip(NEXT) | instid1(VALU_DEP_1)
	v_fmac_f64_e32 v[24:25], v[24:25], v[26:27]
	v_mul_f64_e32 v[26:27], v[28:29], v[24:25]
	s_delay_alu instid0(VALU_DEP_1) | instskip(NEXT) | instid1(VALU_DEP_1)
	v_fma_f64 v[12:13], -v[12:13], v[26:27], v[28:29]
	v_div_fmas_f64 v[12:13], v[12:13], v[24:25], v[26:27]
	s_delay_alu instid0(VALU_DEP_1) | instskip(NEXT) | instid1(VALU_DEP_1)
	v_div_fixup_f64 v[8:9], v[12:13], v[10:11], v[8:9]
	v_fma_f64 v[8:9], v[8:9], v[8:9], 1.0
	s_delay_alu instid0(VALU_DEP_1) | instskip(SKIP_1) | instid1(VALU_DEP_1)
	v_cmp_gt_f64_e32 vcc_lo, 0x10000000, v[8:9]
	v_cndmask_b32_e64 v12, 0, 0x100, vcc_lo
	v_ldexp_f64 v[8:9], v[8:9], v12
	s_delay_alu instid0(VALU_DEP_1) | instskip(SKIP_1) | instid1(TRANS32_DEP_1)
	v_rsq_f64_e32 v[12:13], v[8:9]
	v_nop
	v_mul_f64_e32 v[24:25], v[8:9], v[12:13]
	v_mul_f64_e32 v[12:13], 0.5, v[12:13]
	s_delay_alu instid0(VALU_DEP_1) | instskip(NEXT) | instid1(VALU_DEP_1)
	v_fma_f64 v[26:27], -v[12:13], v[24:25], 0.5
	v_fmac_f64_e32 v[24:25], v[24:25], v[26:27]
	v_fmac_f64_e32 v[12:13], v[12:13], v[26:27]
	s_delay_alu instid0(VALU_DEP_2) | instskip(NEXT) | instid1(VALU_DEP_1)
	v_fma_f64 v[26:27], -v[24:25], v[24:25], v[8:9]
	v_fmac_f64_e32 v[24:25], v[26:27], v[12:13]
	s_delay_alu instid0(VALU_DEP_1) | instskip(NEXT) | instid1(VALU_DEP_1)
	v_fma_f64 v[26:27], -v[24:25], v[24:25], v[8:9]
	v_fmac_f64_e32 v[24:25], v[26:27], v[12:13]
	v_cndmask_b32_e64 v12, 0, 0xffffff80, vcc_lo
	v_cmp_class_f64_e64 vcc_lo, v[8:9], 0x260
	s_delay_alu instid0(VALU_DEP_2) | instskip(NEXT) | instid1(VALU_DEP_1)
	v_ldexp_f64 v[12:13], v[24:25], v12
	v_dual_cndmask_b32 v9, v13, v9 :: v_dual_cndmask_b32 v8, v12, v8
	s_delay_alu instid0(VALU_DEP_1)
	v_mul_f64_e32 v[12:13], v[10:11], v[8:9]
.LBB25_116:                             ;   in Loop: Header=BB25_109 Depth=1
	s_or_b32 exec_lo, exec_lo, s6
                                        ; implicit-def: $vgpr8_vgpr9
                                        ; implicit-def: $vgpr10_vgpr11
.LBB25_117:                             ;   in Loop: Header=BB25_109 Depth=1
	s_and_not1_saveexec_b32 s3, s3
	s_cbranch_execz .LBB25_119
; %bb.118:                              ;   in Loop: Header=BB25_109 Depth=1
	v_div_scale_f64 v[12:13], null, v[8:9], v[8:9], v[10:11]
	v_div_scale_f64 v[28:29], vcc_lo, v[10:11], v[8:9], v[10:11]
	s_delay_alu instid0(VALU_DEP_2) | instskip(SKIP_1) | instid1(TRANS32_DEP_1)
	v_rcp_f64_e32 v[24:25], v[12:13]
	v_nop
	v_fma_f64 v[26:27], -v[12:13], v[24:25], 1.0
	s_delay_alu instid0(VALU_DEP_1) | instskip(NEXT) | instid1(VALU_DEP_1)
	v_fmac_f64_e32 v[24:25], v[24:25], v[26:27]
	v_fma_f64 v[26:27], -v[12:13], v[24:25], 1.0
	s_delay_alu instid0(VALU_DEP_1) | instskip(NEXT) | instid1(VALU_DEP_1)
	v_fmac_f64_e32 v[24:25], v[24:25], v[26:27]
	v_mul_f64_e32 v[26:27], v[28:29], v[24:25]
	s_delay_alu instid0(VALU_DEP_1) | instskip(NEXT) | instid1(VALU_DEP_1)
	v_fma_f64 v[12:13], -v[12:13], v[26:27], v[28:29]
	v_div_fmas_f64 v[12:13], v[12:13], v[24:25], v[26:27]
	s_delay_alu instid0(VALU_DEP_1) | instskip(NEXT) | instid1(VALU_DEP_1)
	v_div_fixup_f64 v[10:11], v[12:13], v[8:9], v[10:11]
	v_fma_f64 v[10:11], v[10:11], v[10:11], 1.0
	s_delay_alu instid0(VALU_DEP_1) | instskip(SKIP_1) | instid1(VALU_DEP_1)
	v_cmp_gt_f64_e32 vcc_lo, 0x10000000, v[10:11]
	v_cndmask_b32_e64 v12, 0, 0x100, vcc_lo
	v_ldexp_f64 v[10:11], v[10:11], v12
	s_delay_alu instid0(VALU_DEP_1) | instskip(SKIP_1) | instid1(TRANS32_DEP_1)
	v_rsq_f64_e32 v[12:13], v[10:11]
	v_nop
	v_mul_f64_e32 v[24:25], v[10:11], v[12:13]
	v_mul_f64_e32 v[12:13], 0.5, v[12:13]
	s_delay_alu instid0(VALU_DEP_1) | instskip(NEXT) | instid1(VALU_DEP_1)
	v_fma_f64 v[26:27], -v[12:13], v[24:25], 0.5
	v_fmac_f64_e32 v[24:25], v[24:25], v[26:27]
	v_fmac_f64_e32 v[12:13], v[12:13], v[26:27]
	s_delay_alu instid0(VALU_DEP_2) | instskip(NEXT) | instid1(VALU_DEP_1)
	v_fma_f64 v[26:27], -v[24:25], v[24:25], v[10:11]
	v_fmac_f64_e32 v[24:25], v[26:27], v[12:13]
	s_delay_alu instid0(VALU_DEP_1) | instskip(NEXT) | instid1(VALU_DEP_1)
	v_fma_f64 v[26:27], -v[24:25], v[24:25], v[10:11]
	v_fmac_f64_e32 v[24:25], v[26:27], v[12:13]
	v_cndmask_b32_e64 v12, 0, 0xffffff80, vcc_lo
	v_cmp_class_f64_e64 vcc_lo, v[10:11], 0x260
	s_delay_alu instid0(VALU_DEP_2) | instskip(NEXT) | instid1(VALU_DEP_1)
	v_ldexp_f64 v[12:13], v[24:25], v12
	v_dual_cndmask_b32 v11, v13, v11 :: v_dual_cndmask_b32 v10, v12, v10
	s_delay_alu instid0(VALU_DEP_1)
	v_mul_f64_e32 v[12:13], v[8:9], v[10:11]
.LBB25_119:                             ;   in Loop: Header=BB25_109 Depth=1
	s_or_b32 exec_lo, exec_lo, s3
	s_delay_alu instid0(VALU_DEP_1)
	v_cmp_ge_f64_e32 vcc_lo, v[6:7], v[12:13]
	v_cndmask_b32_e32 v8, 16, v19, vcc_lo
	scratch_load_b128 v[8:11], v8, off
	s_wait_loadcnt 0x0
	scratch_store_b128 off, v[8:11], off offset:16
	s_wait_storecnt 0x0
	s_wait_xcnt 0x0
	s_and_saveexec_b32 s3, s2
	s_cbranch_execz .LBB25_121
; %bb.120:                              ;   in Loop: Header=BB25_109 Depth=1
	scratch_load_b128 v[8:11], off, off offset:16
	s_wait_loadcnt 0x0
	ds_store_2addr_b64 v22, v[8:9], v[10:11] offset1:1
.LBB25_121:                             ;   in Loop: Header=BB25_109 Depth=1
	s_or_b32 exec_lo, exec_lo, s3
	s_mov_b32 s7, -1
	s_mov_b32 s6, 0
	s_branch .LBB25_111
.LBB25_122:                             ;   in Loop: Header=BB25_109 Depth=1
	v_cmp_neq_f64_e32 vcc_lo, 0, v[2:3]
	v_cmp_neq_f64_e64 s3, 0, v[4:5]
	s_and_not1_b32 s7, s7, exec_lo
	s_mov_b32 s6, -1
	s_or_b32 s3, vcc_lo, s3
	s_delay_alu instid0(SALU_CYCLE_1) | instskip(NEXT) | instid1(SALU_CYCLE_1)
	s_and_b32 s3, s3, exec_lo
	s_or_b32 s7, s7, s3
                                        ; implicit-def: $vgpr8
	s_wait_xcnt 0x0
	s_and_saveexec_b32 s3, s7
	s_delay_alu instid0(SALU_CYCLE_1)
	s_xor_b32 s7, exec_lo, s3
	s_cbranch_execz .LBB25_112
.LBB25_123:                             ;   in Loop: Header=BB25_109 Depth=1
	v_add_nc_u32_e32 v8, 1, v20
	s_mov_b32 s8, exec_lo
	s_delay_alu instid0(VALU_DEP_1) | instskip(NEXT) | instid1(VALU_DEP_1)
	v_add_nc_u32_e32 v9, v8, v14
	v_cmpx_gt_i32_e64 s25, v9
	s_cbranch_execz .LBB25_131
; %bb.124:                              ;   in Loop: Header=BB25_109 Depth=1
	v_dual_mov_b32 v11, v18 :: v_dual_add_nc_u32 v10, v8, v16
	s_mov_b32 s9, 0
	s_delay_alu instid0(VALU_DEP_1)
	v_cmp_gt_i32_e64 s3, s25, v10
	s_branch .LBB25_126
.LBB25_125:                             ;   in Loop: Header=BB25_126 Depth=2
	s_or_b32 exec_lo, exec_lo, s10
	v_add_nc_u32_e32 v9, 32, v9
	v_add_nc_u32_e32 v11, 0x200, v11
	s_delay_alu instid0(VALU_DEP_2) | instskip(SKIP_1) | instid1(SALU_CYCLE_1)
	v_cmp_le_i32_e32 vcc_lo, s25, v9
	s_or_b32 s9, vcc_lo, s9
	s_and_not1_b32 exec_lo, exec_lo, s9
	s_cbranch_execz .LBB25_131
.LBB25_126:                             ;   Parent Loop BB25_109 Depth=1
                                        ; =>  This Loop Header: Depth=2
                                        ;       Child Loop BB25_130 Depth 3
	scratch_load_b128 v[2:5], off, off offset:16
	s_wait_loadcnt 0x0
	v_mul_f64_e32 v[26:27], v[4:5], v[4:5]
	s_delay_alu instid0(VALU_DEP_1) | instskip(NEXT) | instid1(VALU_DEP_1)
	v_fmac_f64_e32 v[26:27], v[2:3], v[2:3]
	v_div_scale_f64 v[12:13], null, v[26:27], v[26:27], 1.0
	v_div_scale_f64 v[24:25], vcc_lo, 1.0, v[26:27], 1.0
	s_delay_alu instid0(VALU_DEP_2) | instskip(SKIP_1) | instid1(TRANS32_DEP_1)
	v_rcp_f64_e32 v[28:29], v[12:13]
	v_nop
	v_fma_f64 v[22:23], -v[12:13], v[28:29], 1.0
	s_delay_alu instid0(VALU_DEP_1) | instskip(NEXT) | instid1(VALU_DEP_1)
	v_fmac_f64_e32 v[28:29], v[28:29], v[22:23]
	v_fma_f64 v[22:23], -v[12:13], v[28:29], 1.0
	s_delay_alu instid0(VALU_DEP_1) | instskip(NEXT) | instid1(VALU_DEP_1)
	v_fmac_f64_e32 v[28:29], v[28:29], v[22:23]
	v_mul_f64_e32 v[30:31], v[24:25], v[28:29]
	s_delay_alu instid0(VALU_DEP_1)
	v_fma_f64 v[32:33], -v[12:13], v[30:31], v[24:25]
	v_lshl_add_u32 v12, v9, 4, v21
	ds_load_b128 v[22:25], v12
	s_wait_storecnt_dscnt 0x0
	v_mul_f64_e32 v[34:35], v[24:25], v[4:5]
	v_mul_f64_e64 v[4:5], v[4:5], -v[22:23]
	v_div_fmas_f64 v[28:29], v[32:33], v[28:29], v[30:31]
	s_delay_alu instid0(VALU_DEP_3) | instskip(NEXT) | instid1(VALU_DEP_3)
	v_fmac_f64_e32 v[34:35], v[22:23], v[2:3]
	v_fmac_f64_e32 v[4:5], v[24:25], v[2:3]
	s_delay_alu instid0(VALU_DEP_3) | instskip(NEXT) | instid1(VALU_DEP_1)
	v_div_fixup_f64 v[22:23], v[28:29], v[26:27], 1.0
	v_mul_f64_e32 v[2:3], v[34:35], v[22:23]
	s_delay_alu instid0(VALU_DEP_3)
	v_mul_f64_e32 v[4:5], v[4:5], v[22:23]
	s_wait_xcnt 0x0
	s_and_saveexec_b32 s10, s1
; %bb.127:                              ;   in Loop: Header=BB25_126 Depth=2
	ds_store_b128 v12, v[2:5]
; %bb.128:                              ;   in Loop: Header=BB25_126 Depth=2
	s_or_b32 exec_lo, exec_lo, s10
	s_and_saveexec_b32 s10, s3
	s_cbranch_execz .LBB25_125
; %bb.129:                              ;   in Loop: Header=BB25_126 Depth=2
	v_dual_mov_b32 v12, v17 :: v_dual_mov_b32 v13, v11
	v_mov_b32_e32 v22, v10
	s_mov_b32 s11, 0
.LBB25_130:                             ;   Parent Loop BB25_109 Depth=1
                                        ;     Parent Loop BB25_126 Depth=2
                                        ; =>    This Inner Loop Header: Depth=3
	ds_load_b128 v[24:27], v12
	ds_load_b128 v[28:31], v13
	v_add_nc_u32_e32 v12, 0x420, v12
	v_add_nc_u32_e32 v22, 2, v22
	s_delay_alu instid0(VALU_DEP_1) | instskip(SKIP_4) | instid1(VALU_DEP_2)
	v_cmp_le_i32_e32 vcc_lo, s25, v22
	s_or_b32 s11, vcc_lo, s11
	s_wait_dscnt 0x0
	v_fma_f64 v[28:29], -v[2:3], v[24:25], v[28:29]
	v_fma_f64 v[24:25], -v[4:5], v[24:25], v[30:31]
	v_fmac_f64_e32 v[28:29], v[4:5], v[26:27]
	s_delay_alu instid0(VALU_DEP_2)
	v_fma_f64 v[30:31], -v[2:3], v[26:27], v[24:25]
	ds_store_b128 v13, v[28:31]
	v_add_nc_u32_e32 v13, 0x420, v13
	s_and_not1_b32 exec_lo, exec_lo, s11
	s_cbranch_execnz .LBB25_130
	s_branch .LBB25_125
.LBB25_131:                             ;   in Loop: Header=BB25_109 Depth=1
	s_or_b32 exec_lo, exec_lo, s8
	s_delay_alu instid0(SALU_CYCLE_1)
	s_and_not1_b32 s6, s6, exec_lo
	s_or_b32 exec_lo, exec_lo, s7
	s_and_saveexec_b32 s3, s6
	s_cbranch_execz .LBB25_108
.LBB25_132:                             ;   in Loop: Header=BB25_109 Depth=1
	v_add_nc_u32_e32 v8, 1, v20
	s_or_b32 s31, s31, exec_lo
	s_branch .LBB25_108
.LBB25_133:
	s_or_b32 exec_lo, exec_lo, s5
	s_wait_storecnt_dscnt 0x0
	s_and_saveexec_b32 s1, s0
	s_cbranch_execnz .LBB25_135
	s_branch .LBB25_144
.LBB25_134:
	s_mov_b32 s4, s31
	s_and_saveexec_b32 s1, s0
	s_cbranch_execz .LBB25_144
.LBB25_135:
	s_mul_i32 s2, s30, s25
	v_bfe_u32 v1, v0, 10, 10
	v_add_nc_u32_e32 v2, s2, v14
	s_cmp_lg_u32 s28, 0
	s_mov_b32 s3, 0
	s_cselect_b32 s5, -1, 0
	v_cmp_gt_u32_e64 s0, s25, v1
	v_mul_lo_u32 v2, s25, v2
	v_mad_u32_u24 v3, 0x210, v1, v15
	s_lshl_b32 s6, s25, 5
	s_branch .LBB25_137
.LBB25_136:                             ;   in Loop: Header=BB25_137 Depth=1
	s_or_b32 exec_lo, exec_lo, s7
	v_add_nc_u32_e32 v14, 32, v14
	s_delay_alu instid0(VALU_DEP_3) | instskip(SKIP_1) | instid1(VALU_DEP_3)
	v_add_nc_u32_e32 v2, s6, v2
	v_add_nc_u32_e32 v3, 0x200, v3
	v_cmp_le_i32_e32 vcc_lo, s25, v14
	s_or_b32 s3, vcc_lo, s3
	s_delay_alu instid0(SALU_CYCLE_1)
	s_and_not1_b32 exec_lo, exec_lo, s3
	s_cbranch_execz .LBB25_144
.LBB25_137:                             ; =>This Loop Header: Depth=1
                                        ;     Child Loop BB25_140 Depth 2
	s_and_saveexec_b32 s7, s0
	s_cbranch_execz .LBB25_136
; %bb.138:                              ;   in Loop: Header=BB25_137 Depth=1
	v_dual_mov_b32 v4, v3 :: v_dual_mov_b32 v5, v1
	s_mov_b32 s8, 0
	s_branch .LBB25_140
.LBB25_139:                             ;   in Loop: Header=BB25_140 Depth=2
	ds_load_2addr_b64 v[8:11], v4 offset1:1
	v_add_nc_u32_e32 v5, 2, v5
	v_add_nc_u32_e32 v4, 0x420, v4
	s_delay_alu instid0(VALU_DEP_2)
	v_cmp_le_i32_e32 vcc_lo, s25, v5
	s_or_b32 s8, vcc_lo, s8
	s_wait_dscnt 0x0
	global_store_b128 v6, v[8:11], s[12:13] scale_offset
	s_wait_xcnt 0x0
	s_and_not1_b32 exec_lo, exec_lo, s8
	s_cbranch_execz .LBB25_136
.LBB25_140:                             ;   Parent Loop BB25_137 Depth=1
                                        ; =>  This Inner Loop Header: Depth=2
	s_and_b32 vcc_lo, exec_lo, s5
	s_cbranch_vccz .LBB25_142
; %bb.141:                              ;   in Loop: Header=BB25_140 Depth=2
	v_add_nc_u32_e32 v6, s2, v5
	s_delay_alu instid0(VALU_DEP_1)
	v_mad_u32 v6, v6, s25, v14
	s_cbranch_execnz .LBB25_139
	s_branch .LBB25_143
.LBB25_142:                             ;   in Loop: Header=BB25_140 Depth=2
                                        ; implicit-def: $vgpr6
.LBB25_143:                             ;   in Loop: Header=BB25_140 Depth=2
	v_add_nc_u32_e32 v6, v2, v5
	s_branch .LBB25_139
.LBB25_144:
	s_or_b32 exec_lo, exec_lo, s1
	s_add_co_i32 s5, s30, 1
	s_delay_alu instid0(SALU_CYCLE_1)
	s_cmp_ge_i32 s5, s27
	s_cbranch_scc1 .LBB25_196
.LBB25_145:
	v_and_b32_e32 v1, 0x3ff, v0
	v_bfe_u32 v2, v0, 10, 10
	s_cmp_lg_u32 s28, 0
	s_movk_i32 s3, 0x4210
	s_cselect_b32 s6, -1, 0
	v_mad_u32 v4, s25, s5, v1
	v_dual_add_nc_u32 v3, 1, v2 :: v_dual_lshlrev_b32 v8, 4, v2
	s_cmp_gt_i32 s25, 0
	v_mul_u32_u24_e32 v5, 0x210, v2
	s_cselect_b32 s7, -1, 0
	s_cmp_lg_u32 s25, 1
	v_dual_lshlrev_b32 v6, 4, v1 :: v_dual_add_nc_u32 v7, 16, v8
	v_mad_u32_u24 v9, 0x210, v1, v8
	s_cselect_b32 s8, -1, 0
	s_and_b32 s9, s25, 0x7ffffffe
	s_bitcmp1_b32 s25, 0
	v_cmp_gt_i32_e64 s0, s25, v1
	v_cmp_le_i32_e64 s1, s25, v1
	v_cmp_gt_i32_e64 s2, s25, v2
	v_mul_lo_u32 v4, s25, v4
	v_add3_u32 v5, v5, v6, 0x4200
	v_add_nc_u32_e32 v6, 0x4210, v9
	v_add_nc_u32_e32 v8, 0x230, v8
	;; [unrolled: 1-line block ×3, first 2 shown]
	v_mad_u32_u24 v10, 0x210, v1, s3
	s_cselect_b32 s10, -1, 0
	s_mul_i32 s11, s25, s25
	s_lshl_b32 s14, s25, 5
	s_branch .LBB25_148
.LBB25_146:                             ;   in Loop: Header=BB25_148 Depth=1
	s_or_b32 exec_lo, exec_lo, s15
.LBB25_147:                             ;   in Loop: Header=BB25_148 Depth=1
	s_delay_alu instid0(SALU_CYCLE_1) | instskip(SKIP_2) | instid1(SALU_CYCLE_1)
	s_or_b32 exec_lo, exec_lo, s3
	v_add_nc_u32_e32 v4, s11, v4
	s_add_co_i32 s5, s5, 1
	s_cmp_ge_i32 s5, s27
	s_cbranch_scc1 .LBB25_196
.LBB25_148:                             ; =>This Loop Header: Depth=1
                                        ;     Child Loop BB25_151 Depth 2
                                        ;       Child Loop BB25_154 Depth 3
                                        ;     Child Loop BB25_162 Depth 2
                                        ;       Child Loop BB25_165 Depth 3
                                        ;         Child Loop BB25_167 Depth 4
                                        ;       Child Loop BB25_170 Depth 3
                                        ;         Child Loop BB25_172 Depth 4
                                        ;     Child Loop BB25_179 Depth 2
                                        ;       Child Loop BB25_181 Depth 3
                                        ;     Child Loop BB25_189 Depth 2
                                        ;       Child Loop BB25_192 Depth 3
	s_wait_storecnt_dscnt 0x0
	s_and_saveexec_b32 s3, s0
	s_cbranch_execz .LBB25_158
; %bb.149:                              ;   in Loop: Header=BB25_148 Depth=1
	v_dual_mov_b32 v11, v5 :: v_dual_mov_b32 v12, v4
	v_mov_b32_e32 v13, v1
	s_mul_i32 s15, s5, s25
	s_mov_b32 s16, 0
	s_branch .LBB25_151
.LBB25_150:                             ;   in Loop: Header=BB25_151 Depth=2
	s_or_b32 exec_lo, exec_lo, s17
	v_dual_add_nc_u32 v13, 32, v13 :: v_dual_add_nc_u32 v12, s14, v12
	v_add_nc_u32_e32 v11, 0x200, v11
	s_delay_alu instid0(VALU_DEP_2) | instskip(SKIP_1) | instid1(SALU_CYCLE_1)
	v_cmp_le_i32_e32 vcc_lo, s25, v13
	s_or_b32 s16, vcc_lo, s16
	s_and_not1_b32 exec_lo, exec_lo, s16
	s_cbranch_execz .LBB25_158
.LBB25_151:                             ;   Parent Loop BB25_148 Depth=1
                                        ; =>  This Loop Header: Depth=2
                                        ;       Child Loop BB25_154 Depth 3
	s_and_saveexec_b32 s17, s2
	s_cbranch_execz .LBB25_150
; %bb.152:                              ;   in Loop: Header=BB25_151 Depth=2
	v_dual_mov_b32 v14, v11 :: v_dual_mov_b32 v15, v2
	s_mov_b32 s28, 0
	s_branch .LBB25_154
.LBB25_153:                             ;   in Loop: Header=BB25_154 Depth=3
	global_load_b128 v[16:19], v16, s[12:13] scale_offset
	v_add_nc_u32_e32 v15, 2, v15
	s_delay_alu instid0(VALU_DEP_1)
	v_cmp_le_i32_e32 vcc_lo, s25, v15
	s_or_b32 s28, vcc_lo, s28
	s_wait_loadcnt 0x0
	ds_store_2addr_b64 v14, v[16:17], v[18:19] offset1:1
	v_add_nc_u32_e32 v14, 0x420, v14
	s_wait_xcnt 0x0
	s_and_not1_b32 exec_lo, exec_lo, s28
	s_cbranch_execz .LBB25_150
.LBB25_154:                             ;   Parent Loop BB25_148 Depth=1
                                        ;     Parent Loop BB25_151 Depth=2
                                        ; =>    This Inner Loop Header: Depth=3
	s_and_b32 vcc_lo, exec_lo, s6
	s_cbranch_vccz .LBB25_156
; %bb.155:                              ;   in Loop: Header=BB25_154 Depth=3
	v_add_nc_u32_e32 v16, s15, v15
	s_delay_alu instid0(VALU_DEP_1)
	v_mad_u32 v16, v16, s25, v13
	s_cbranch_execnz .LBB25_153
	s_branch .LBB25_157
.LBB25_156:                             ;   in Loop: Header=BB25_154 Depth=3
                                        ; implicit-def: $vgpr16
.LBB25_157:                             ;   in Loop: Header=BB25_154 Depth=3
	v_add_nc_u32_e32 v16, v12, v15
	s_branch .LBB25_153
.LBB25_158:                             ;   in Loop: Header=BB25_148 Depth=1
	s_or_b32 exec_lo, exec_lo, s3
	s_delay_alu instid0(SALU_CYCLE_1)
	s_and_not1_b32 vcc_lo, exec_lo, s7
	s_wait_dscnt 0x0
	s_cbranch_vccnz .LBB25_182
; %bb.159:                              ;   in Loop: Header=BB25_148 Depth=1
	s_and_not1_b32 vcc_lo, exec_lo, s8
	s_mov_b32 s3, 0
	s_cbranch_vccnz .LBB25_173
; %bb.160:                              ;   in Loop: Header=BB25_148 Depth=1
	v_dual_mov_b32 v11, v9 :: v_dual_mov_b32 v12, v8
	v_dual_mov_b32 v13, v7 :: v_dual_mov_b32 v14, v6
	s_mov_b32 s15, 0
	s_branch .LBB25_162
.LBB25_161:                             ;   in Loop: Header=BB25_162 Depth=2
	s_or_b32 exec_lo, exec_lo, s16
	v_dual_add_nc_u32 v14, 32, v14 :: v_dual_add_nc_u32 v11, 32, v11
	v_add_nc_u32_e32 v13, 0x440, v13
	v_add_nc_u32_e32 v12, 0x440, v12
	s_add_co_i32 s15, s15, 2
	s_mov_b32 s3, s9
	s_cmp_eq_u32 s15, s9
	s_cbranch_scc1 .LBB25_173
.LBB25_162:                             ;   Parent Loop BB25_148 Depth=1
                                        ; =>  This Loop Header: Depth=2
                                        ;       Child Loop BB25_165 Depth 3
                                        ;         Child Loop BB25_167 Depth 4
                                        ;       Child Loop BB25_170 Depth 3
                                        ;         Child Loop BB25_172 Depth 4
	s_and_saveexec_b32 s16, s0
	s_cbranch_execz .LBB25_161
; %bb.163:                              ;   in Loop: Header=BB25_162 Depth=2
	v_dual_mov_b32 v16, v14 :: v_dual_add_nc_u32 v15, s15, v3
	v_mov_b32_e32 v17, v1
	s_lshl_b32 s17, s15, 4
	s_mov_b32 s28, 0
	s_addk_co_i32 s17, 0x4200
	v_cmp_gt_i32_e32 vcc_lo, s25, v15
	s_branch .LBB25_165
.LBB25_164:                             ;   in Loop: Header=BB25_165 Depth=3
	s_or_b32 exec_lo, exec_lo, s29
	v_add_nc_u32_e32 v17, 32, v17
	v_add_nc_u32_e32 v16, 0x4200, v16
	s_delay_alu instid0(VALU_DEP_2) | instskip(SKIP_1) | instid1(SALU_CYCLE_1)
	v_cmp_le_i32_e64 s3, s25, v17
	s_or_b32 s28, s3, s28
	s_and_not1_b32 exec_lo, exec_lo, s28
	s_cbranch_execz .LBB25_168
.LBB25_165:                             ;   Parent Loop BB25_148 Depth=1
                                        ;     Parent Loop BB25_162 Depth=2
                                        ; =>    This Loop Header: Depth=3
                                        ;         Child Loop BB25_167 Depth 4
	s_and_saveexec_b32 s29, vcc_lo
	s_cbranch_execz .LBB25_164
; %bb.166:                              ;   in Loop: Header=BB25_165 Depth=3
	v_mad_u32 v18, 0x210, v17, s17
	v_dual_mov_b32 v19, v13 :: v_dual_mov_b32 v20, v16
	v_mov_b32_e32 v21, v15
	s_mov_b32 s30, 0
.LBB25_167:                             ;   Parent Loop BB25_148 Depth=1
                                        ;     Parent Loop BB25_162 Depth=2
                                        ;       Parent Loop BB25_165 Depth=3
                                        ; =>      This Inner Loop Header: Depth=4
	ds_load_b128 v[22:25], v19
	ds_load_b128 v[26:29], v18
	;; [unrolled: 1-line block ×3, first 2 shown]
	v_dual_add_nc_u32 v21, 2, v21 :: v_dual_add_nc_u32 v19, 32, v19
	s_delay_alu instid0(VALU_DEP_1) | instskip(SKIP_4) | instid1(VALU_DEP_2)
	v_cmp_le_i32_e64 s3, s25, v21
	s_or_b32 s30, s3, s30
	s_wait_dscnt 0x0
	v_fma_f64 v[30:31], -v[22:23], v[26:27], v[30:31]
	v_fma_f64 v[26:27], -v[24:25], v[26:27], v[32:33]
	v_fmac_f64_e32 v[30:31], v[24:25], v[28:29]
	s_delay_alu instid0(VALU_DEP_2)
	v_fma_f64 v[32:33], -v[22:23], v[28:29], v[26:27]
	ds_store_b128 v20, v[30:33]
	v_add_nc_u32_e32 v20, 32, v20
	s_and_not1_b32 exec_lo, exec_lo, s30
	s_cbranch_execnz .LBB25_167
	s_branch .LBB25_164
.LBB25_168:                             ;   in Loop: Header=BB25_162 Depth=2
	s_or_b32 exec_lo, exec_lo, s28
	v_add3_u32 v15, v3, s15, 1
	v_dual_mov_b32 v16, v11 :: v_dual_mov_b32 v17, v1
	s_mov_b32 s28, 0
	s_delay_alu instid0(VALU_DEP_2)
	v_cmp_gt_i32_e32 vcc_lo, s25, v15
	s_branch .LBB25_170
.LBB25_169:                             ;   in Loop: Header=BB25_170 Depth=3
	s_or_b32 exec_lo, exec_lo, s29
	v_add_nc_u32_e32 v17, 32, v17
	v_add_nc_u32_e32 v16, 0x4200, v16
	s_delay_alu instid0(VALU_DEP_2) | instskip(SKIP_1) | instid1(SALU_CYCLE_1)
	v_cmp_le_i32_e64 s3, s25, v17
	s_or_b32 s28, s3, s28
	s_and_not1_b32 exec_lo, exec_lo, s28
	s_cbranch_execz .LBB25_161
.LBB25_170:                             ;   Parent Loop BB25_148 Depth=1
                                        ;     Parent Loop BB25_162 Depth=2
                                        ; =>    This Loop Header: Depth=3
                                        ;         Child Loop BB25_172 Depth 4
	s_and_saveexec_b32 s29, vcc_lo
	s_cbranch_execz .LBB25_169
; %bb.171:                              ;   in Loop: Header=BB25_170 Depth=3
	v_mad_u32 v18, 0x210, v17, s17
	v_dual_mov_b32 v19, v16 :: v_dual_mov_b32 v20, v12
	v_mov_b32_e32 v21, v15
	s_mov_b32 s30, 0
.LBB25_172:                             ;   Parent Loop BB25_148 Depth=1
                                        ;     Parent Loop BB25_162 Depth=2
                                        ;       Parent Loop BB25_170 Depth=3
                                        ; =>      This Inner Loop Header: Depth=4
	ds_load_b128 v[22:25], v20
	ds_load_b128 v[26:29], v18 offset:16
	ds_load_b128 v[30:33], v19
	v_dual_add_nc_u32 v21, 2, v21 :: v_dual_add_nc_u32 v20, 32, v20
	s_delay_alu instid0(VALU_DEP_1) | instskip(SKIP_4) | instid1(VALU_DEP_2)
	v_cmp_le_i32_e64 s3, s25, v21
	s_or_b32 s30, s3, s30
	s_wait_dscnt 0x0
	v_fma_f64 v[30:31], -v[22:23], v[26:27], v[30:31]
	v_fma_f64 v[26:27], -v[24:25], v[26:27], v[32:33]
	v_fmac_f64_e32 v[30:31], v[24:25], v[28:29]
	s_delay_alu instid0(VALU_DEP_2)
	v_fma_f64 v[32:33], -v[22:23], v[28:29], v[26:27]
	ds_store_b128 v19, v[30:33]
	v_add_nc_u32_e32 v19, 32, v19
	s_and_not1_b32 exec_lo, exec_lo, s30
	s_cbranch_execnz .LBB25_172
	s_branch .LBB25_169
.LBB25_173:                             ;   in Loop: Header=BB25_148 Depth=1
	s_and_not1_b32 vcc_lo, exec_lo, s10
	s_mov_b32 s16, -1
	s_cbranch_vccnz .LBB25_183
; %bb.174:                              ;   in Loop: Header=BB25_148 Depth=1
	s_and_saveexec_b32 s15, s1
	s_delay_alu instid0(SALU_CYCLE_1)
	s_xor_b32 s15, exec_lo, s15
	s_cbranch_execz .LBB25_176
; %bb.175:                              ;   in Loop: Header=BB25_148 Depth=1
	s_wait_dscnt 0x0
.LBB25_176:                             ;   in Loop: Header=BB25_148 Depth=1
	s_or_saveexec_b32 s15, s15
	s_mov_b32 s16, 0
	s_xor_b32 exec_lo, exec_lo, s15
	s_cbranch_execz .LBB25_185
; %bb.177:                              ;   in Loop: Header=BB25_148 Depth=1
	v_mad_u32 v12, 0x220, s3, v7
	v_dual_add_nc_u32 v11, s3, v3 :: v_dual_add_nc_u32 v13, s3, v2
	v_mov_b32_e32 v14, v1
	s_lshl_b32 s17, s3, 4
	s_delay_alu instid0(SALU_CYCLE_1) | instskip(NEXT) | instid1(VALU_DEP_2)
	s_addk_co_i32 s17, 0x4200
	v_lshl_add_u32 v13, v13, 4, v10
	v_cmp_gt_i32_e32 vcc_lo, s25, v11
	s_branch .LBB25_179
.LBB25_178:                             ;   in Loop: Header=BB25_179 Depth=2
	s_or_b32 exec_lo, exec_lo, s28
	v_add_nc_u32_e32 v14, 32, v14
	v_add_nc_u32_e32 v13, 0x4200, v13
	s_delay_alu instid0(VALU_DEP_2) | instskip(SKIP_1) | instid1(SALU_CYCLE_1)
	v_cmp_le_i32_e64 s3, s25, v14
	s_or_b32 s16, s3, s16
	s_and_not1_b32 exec_lo, exec_lo, s16
	s_cbranch_execz .LBB25_184
.LBB25_179:                             ;   Parent Loop BB25_148 Depth=1
                                        ; =>  This Loop Header: Depth=2
                                        ;       Child Loop BB25_181 Depth 3
	s_and_saveexec_b32 s28, vcc_lo
	s_cbranch_execz .LBB25_178
; %bb.180:                              ;   in Loop: Header=BB25_179 Depth=2
	v_mad_u32 v15, 0x210, v14, s17
	v_dual_mov_b32 v16, v12 :: v_dual_mov_b32 v17, v13
	v_mov_b32_e32 v18, v11
	s_mov_b32 s29, 0
.LBB25_181:                             ;   Parent Loop BB25_148 Depth=1
                                        ;     Parent Loop BB25_179 Depth=2
                                        ; =>    This Inner Loop Header: Depth=3
	ds_load_b128 v[20:23], v16
	ds_load_b128 v[24:27], v15
	;; [unrolled: 1-line block ×3, first 2 shown]
	v_dual_add_nc_u32 v16, 32, v16 :: v_dual_add_nc_u32 v18, 2, v18
	s_delay_alu instid0(VALU_DEP_1) | instskip(SKIP_4) | instid1(VALU_DEP_2)
	v_cmp_le_i32_e64 s3, s25, v18
	s_or_b32 s29, s3, s29
	s_wait_dscnt 0x0
	v_fma_f64 v[28:29], -v[20:21], v[24:25], v[28:29]
	v_fma_f64 v[24:25], -v[22:23], v[24:25], v[30:31]
	v_fmac_f64_e32 v[28:29], v[22:23], v[26:27]
	s_delay_alu instid0(VALU_DEP_2)
	v_fma_f64 v[30:31], -v[20:21], v[26:27], v[24:25]
	ds_store_b128 v17, v[28:31]
	v_add_nc_u32_e32 v17, 32, v17
	s_and_not1_b32 exec_lo, exec_lo, s29
	s_cbranch_execnz .LBB25_181
	s_branch .LBB25_178
.LBB25_182:                             ;   in Loop: Header=BB25_148 Depth=1
	s_mov_b32 s16, -1
.LBB25_183:                             ;   in Loop: Header=BB25_148 Depth=1
	s_delay_alu instid0(SALU_CYCLE_1) | instskip(NEXT) | instid1(SALU_CYCLE_1)
	s_and_saveexec_b32 s3, s16
	s_xor_b32 s3, exec_lo, s3
	s_cbranch_execz .LBB25_147
	s_branch .LBB25_186
.LBB25_184:                             ;   in Loop: Header=BB25_148 Depth=1
	s_or_b32 exec_lo, exec_lo, s16
	s_delay_alu instid0(SALU_CYCLE_1)
	s_mov_b32 s16, exec_lo
.LBB25_185:                             ;   in Loop: Header=BB25_148 Depth=1
	s_or_b32 exec_lo, exec_lo, s15
	s_and_saveexec_b32 s3, s16
	s_delay_alu instid0(SALU_CYCLE_1)
	s_xor_b32 s3, exec_lo, s3
	s_cbranch_execz .LBB25_147
.LBB25_186:                             ;   in Loop: Header=BB25_148 Depth=1
	s_wait_dscnt 0x0
	s_and_saveexec_b32 s15, s0
	s_cbranch_execz .LBB25_146
; %bb.187:                              ;   in Loop: Header=BB25_148 Depth=1
	v_dual_mov_b32 v11, v5 :: v_dual_mov_b32 v12, v4
	v_mov_b32_e32 v13, v1
	s_mul_i32 s16, s5, s25
	s_mov_b32 s17, 0
	s_branch .LBB25_189
.LBB25_188:                             ;   in Loop: Header=BB25_189 Depth=2
	s_or_b32 exec_lo, exec_lo, s28
	v_dual_add_nc_u32 v13, 32, v13 :: v_dual_add_nc_u32 v12, s14, v12
	v_add_nc_u32_e32 v11, 0x200, v11
	s_delay_alu instid0(VALU_DEP_2) | instskip(SKIP_1) | instid1(SALU_CYCLE_1)
	v_cmp_le_i32_e32 vcc_lo, s25, v13
	s_or_b32 s17, vcc_lo, s17
	s_and_not1_b32 exec_lo, exec_lo, s17
	s_cbranch_execz .LBB25_146
.LBB25_189:                             ;   Parent Loop BB25_148 Depth=1
                                        ; =>  This Loop Header: Depth=2
                                        ;       Child Loop BB25_192 Depth 3
	s_and_saveexec_b32 s28, s2
	s_cbranch_execz .LBB25_188
; %bb.190:                              ;   in Loop: Header=BB25_189 Depth=2
	v_dual_mov_b32 v14, v11 :: v_dual_mov_b32 v15, v2
	s_mov_b32 s29, 0
	s_branch .LBB25_192
.LBB25_191:                             ;   in Loop: Header=BB25_192 Depth=3
	ds_load_2addr_b64 v[18:21], v14 offset1:1
	v_add_nc_u32_e32 v15, 2, v15
	v_add_nc_u32_e32 v14, 0x420, v14
	s_delay_alu instid0(VALU_DEP_2)
	v_cmp_le_i32_e32 vcc_lo, s25, v15
	s_or_b32 s29, vcc_lo, s29
	s_wait_dscnt 0x0
	global_store_b128 v16, v[18:21], s[12:13] scale_offset
	s_wait_xcnt 0x0
	s_and_not1_b32 exec_lo, exec_lo, s29
	s_cbranch_execz .LBB25_188
.LBB25_192:                             ;   Parent Loop BB25_148 Depth=1
                                        ;     Parent Loop BB25_189 Depth=2
                                        ; =>    This Inner Loop Header: Depth=3
	s_and_b32 vcc_lo, exec_lo, s6
	s_cbranch_vccz .LBB25_194
; %bb.193:                              ;   in Loop: Header=BB25_192 Depth=3
	v_add_nc_u32_e32 v16, s16, v15
	s_delay_alu instid0(VALU_DEP_1)
	v_mad_u32 v16, v16, s25, v13
	s_cbranch_execnz .LBB25_191
	s_branch .LBB25_195
.LBB25_194:                             ;   in Loop: Header=BB25_192 Depth=3
                                        ; implicit-def: $vgpr16
.LBB25_195:                             ;   in Loop: Header=BB25_192 Depth=3
	v_add_nc_u32_e32 v16, v12, v15
	s_branch .LBB25_191
.LBB25_196:
	v_and_b32_e32 v0, 0xfffff, v0
	s_mov_b32 s0, exec_lo
	s_delay_alu instid0(VALU_DEP_1)
	v_cmpx_eq_u32_e32 0, v0
	s_cbranch_execz .LBB25_200
; %bb.197:
	v_dual_mov_b32 v0, 0 :: v_dual_mov_b32 v1, 1
	s_add_nc_u64 s[0:1], s[20:21], s[22:23]
	global_wb scope:SCOPE_DEV
	s_wait_storecnt_dscnt 0x0
	global_store_b32 v0, v1, s[0:1] scope:SCOPE_DEV
	s_wait_xcnt 0x0
	s_and_b32 exec_lo, exec_lo, s4
	s_cbranch_execz .LBB25_200
; %bb.198:
	v_mbcnt_lo_u32_b32 v0, exec_lo, 0
	s_delay_alu instid0(VALU_DEP_1)
	v_cmp_eq_u32_e32 vcc_lo, 0, v0
	s_and_b32 exec_lo, exec_lo, vcc_lo
	s_cbranch_execz .LBB25_200
; %bb.199:
	s_add_co_i32 s0, s26, s24
	s_delay_alu instid0(SALU_CYCLE_1)
	v_dual_mov_b32 v0, 0 :: v_dual_mov_b32 v1, s0
	global_atomic_min_i32 v0, v1, s[18:19] scope:SCOPE_DEV
.LBB25_200:
	s_endpgm
	.section	.rodata,"a",@progbits
	.p2align	6, 0x0
	.amdhsa_kernel _ZN9rocsparseL12bsrilu0_9_32ILj64ELj64ELj32E21rocsparse_complex_numIdEEEv20rocsparse_direction_iPKiS5_PT2_S5_iPiS5_S8_21rocsparse_index_base_imNS_24const_host_device_scalarIfEENSA_IdEENSA_IS6_EEb
		.amdhsa_group_segment_fixed_size 33792
		.amdhsa_private_segment_fixed_size 48
		.amdhsa_kernarg_size 124
		.amdhsa_user_sgpr_count 2
		.amdhsa_user_sgpr_dispatch_ptr 0
		.amdhsa_user_sgpr_queue_ptr 0
		.amdhsa_user_sgpr_kernarg_segment_ptr 1
		.amdhsa_user_sgpr_dispatch_id 0
		.amdhsa_user_sgpr_kernarg_preload_length 0
		.amdhsa_user_sgpr_kernarg_preload_offset 0
		.amdhsa_user_sgpr_private_segment_size 0
		.amdhsa_wavefront_size32 1
		.amdhsa_uses_dynamic_stack 0
		.amdhsa_enable_private_segment 1
		.amdhsa_system_sgpr_workgroup_id_x 1
		.amdhsa_system_sgpr_workgroup_id_y 0
		.amdhsa_system_sgpr_workgroup_id_z 0
		.amdhsa_system_sgpr_workgroup_info 0
		.amdhsa_system_vgpr_workitem_id 1
		.amdhsa_next_free_vgpr 161
		.amdhsa_next_free_sgpr 46
		.amdhsa_named_barrier_count 0
		.amdhsa_reserve_vcc 1
		.amdhsa_float_round_mode_32 0
		.amdhsa_float_round_mode_16_64 0
		.amdhsa_float_denorm_mode_32 3
		.amdhsa_float_denorm_mode_16_64 3
		.amdhsa_fp16_overflow 0
		.amdhsa_memory_ordered 1
		.amdhsa_forward_progress 1
		.amdhsa_inst_pref_size 53
		.amdhsa_round_robin_scheduling 0
		.amdhsa_exception_fp_ieee_invalid_op 0
		.amdhsa_exception_fp_denorm_src 0
		.amdhsa_exception_fp_ieee_div_zero 0
		.amdhsa_exception_fp_ieee_overflow 0
		.amdhsa_exception_fp_ieee_underflow 0
		.amdhsa_exception_fp_ieee_inexact 0
		.amdhsa_exception_int_div_zero 0
	.end_amdhsa_kernel
	.section	.text._ZN9rocsparseL12bsrilu0_9_32ILj64ELj64ELj32E21rocsparse_complex_numIdEEEv20rocsparse_direction_iPKiS5_PT2_S5_iPiS5_S8_21rocsparse_index_base_imNS_24const_host_device_scalarIfEENSA_IdEENSA_IS6_EEb,"axG",@progbits,_ZN9rocsparseL12bsrilu0_9_32ILj64ELj64ELj32E21rocsparse_complex_numIdEEEv20rocsparse_direction_iPKiS5_PT2_S5_iPiS5_S8_21rocsparse_index_base_imNS_24const_host_device_scalarIfEENSA_IdEENSA_IS6_EEb,comdat
.Lfunc_end25:
	.size	_ZN9rocsparseL12bsrilu0_9_32ILj64ELj64ELj32E21rocsparse_complex_numIdEEEv20rocsparse_direction_iPKiS5_PT2_S5_iPiS5_S8_21rocsparse_index_base_imNS_24const_host_device_scalarIfEENSA_IdEENSA_IS6_EEb, .Lfunc_end25-_ZN9rocsparseL12bsrilu0_9_32ILj64ELj64ELj32E21rocsparse_complex_numIdEEEv20rocsparse_direction_iPKiS5_PT2_S5_iPiS5_S8_21rocsparse_index_base_imNS_24const_host_device_scalarIfEENSA_IdEENSA_IS6_EEb
                                        ; -- End function
	.set _ZN9rocsparseL12bsrilu0_9_32ILj64ELj64ELj32E21rocsparse_complex_numIdEEEv20rocsparse_direction_iPKiS5_PT2_S5_iPiS5_S8_21rocsparse_index_base_imNS_24const_host_device_scalarIfEENSA_IdEENSA_IS6_EEb.num_vgpr, 44
	.set _ZN9rocsparseL12bsrilu0_9_32ILj64ELj64ELj32E21rocsparse_complex_numIdEEEv20rocsparse_direction_iPKiS5_PT2_S5_iPiS5_S8_21rocsparse_index_base_imNS_24const_host_device_scalarIfEENSA_IdEENSA_IS6_EEb.num_agpr, 0
	.set _ZN9rocsparseL12bsrilu0_9_32ILj64ELj64ELj32E21rocsparse_complex_numIdEEEv20rocsparse_direction_iPKiS5_PT2_S5_iPiS5_S8_21rocsparse_index_base_imNS_24const_host_device_scalarIfEENSA_IdEENSA_IS6_EEb.numbered_sgpr, 46
	.set _ZN9rocsparseL12bsrilu0_9_32ILj64ELj64ELj32E21rocsparse_complex_numIdEEEv20rocsparse_direction_iPKiS5_PT2_S5_iPiS5_S8_21rocsparse_index_base_imNS_24const_host_device_scalarIfEENSA_IdEENSA_IS6_EEb.num_named_barrier, 0
	.set _ZN9rocsparseL12bsrilu0_9_32ILj64ELj64ELj32E21rocsparse_complex_numIdEEEv20rocsparse_direction_iPKiS5_PT2_S5_iPiS5_S8_21rocsparse_index_base_imNS_24const_host_device_scalarIfEENSA_IdEENSA_IS6_EEb.private_seg_size, 48
	.set _ZN9rocsparseL12bsrilu0_9_32ILj64ELj64ELj32E21rocsparse_complex_numIdEEEv20rocsparse_direction_iPKiS5_PT2_S5_iPiS5_S8_21rocsparse_index_base_imNS_24const_host_device_scalarIfEENSA_IdEENSA_IS6_EEb.uses_vcc, 1
	.set _ZN9rocsparseL12bsrilu0_9_32ILj64ELj64ELj32E21rocsparse_complex_numIdEEEv20rocsparse_direction_iPKiS5_PT2_S5_iPiS5_S8_21rocsparse_index_base_imNS_24const_host_device_scalarIfEENSA_IdEENSA_IS6_EEb.uses_flat_scratch, 0
	.set _ZN9rocsparseL12bsrilu0_9_32ILj64ELj64ELj32E21rocsparse_complex_numIdEEEv20rocsparse_direction_iPKiS5_PT2_S5_iPiS5_S8_21rocsparse_index_base_imNS_24const_host_device_scalarIfEENSA_IdEENSA_IS6_EEb.has_dyn_sized_stack, 0
	.set _ZN9rocsparseL12bsrilu0_9_32ILj64ELj64ELj32E21rocsparse_complex_numIdEEEv20rocsparse_direction_iPKiS5_PT2_S5_iPiS5_S8_21rocsparse_index_base_imNS_24const_host_device_scalarIfEENSA_IdEENSA_IS6_EEb.has_recursion, 0
	.set _ZN9rocsparseL12bsrilu0_9_32ILj64ELj64ELj32E21rocsparse_complex_numIdEEEv20rocsparse_direction_iPKiS5_PT2_S5_iPiS5_S8_21rocsparse_index_base_imNS_24const_host_device_scalarIfEENSA_IdEENSA_IS6_EEb.has_indirect_call, 0
	.section	.AMDGPU.csdata,"",@progbits
; Kernel info:
; codeLenInByte = 6688
; TotalNumSgprs: 48
; NumVgprs: 44
; ScratchSize: 48
; MemoryBound: 0
; FloatMode: 240
; IeeeMode: 1
; LDSByteSize: 33792 bytes/workgroup (compile time only)
; SGPRBlocks: 0
; VGPRBlocks: 10
; NumSGPRsForWavesPerEU: 48
; NumVGPRsForWavesPerEU: 161
; NamedBarCnt: 0
; Occupancy: 5
; WaveLimiterHint : 1
; COMPUTE_PGM_RSRC2:SCRATCH_EN: 1
; COMPUTE_PGM_RSRC2:USER_SGPR: 2
; COMPUTE_PGM_RSRC2:TRAP_HANDLER: 0
; COMPUTE_PGM_RSRC2:TGID_X_EN: 1
; COMPUTE_PGM_RSRC2:TGID_Y_EN: 0
; COMPUTE_PGM_RSRC2:TGID_Z_EN: 0
; COMPUTE_PGM_RSRC2:TIDIG_COMP_CNT: 1
	.section	.text._ZN9rocsparseL15bsrilu0_generalILj128ELj64ELb0E21rocsparse_complex_numIdEEEv20rocsparse_direction_iPKiS5_PT2_S5_iPiS5_S8_21rocsparse_index_base_imNS_24const_host_device_scalarIfEENSA_IdEENSA_IS6_EEb,"axG",@progbits,_ZN9rocsparseL15bsrilu0_generalILj128ELj64ELb0E21rocsparse_complex_numIdEEEv20rocsparse_direction_iPKiS5_PT2_S5_iPiS5_S8_21rocsparse_index_base_imNS_24const_host_device_scalarIfEENSA_IdEENSA_IS6_EEb,comdat
	.globl	_ZN9rocsparseL15bsrilu0_generalILj128ELj64ELb0E21rocsparse_complex_numIdEEEv20rocsparse_direction_iPKiS5_PT2_S5_iPiS5_S8_21rocsparse_index_base_imNS_24const_host_device_scalarIfEENSA_IdEENSA_IS6_EEb ; -- Begin function _ZN9rocsparseL15bsrilu0_generalILj128ELj64ELb0E21rocsparse_complex_numIdEEEv20rocsparse_direction_iPKiS5_PT2_S5_iPiS5_S8_21rocsparse_index_base_imNS_24const_host_device_scalarIfEENSA_IdEENSA_IS6_EEb
	.p2align	8
	.type	_ZN9rocsparseL15bsrilu0_generalILj128ELj64ELb0E21rocsparse_complex_numIdEEEv20rocsparse_direction_iPKiS5_PT2_S5_iPiS5_S8_21rocsparse_index_base_imNS_24const_host_device_scalarIfEENSA_IdEENSA_IS6_EEb,@function
_ZN9rocsparseL15bsrilu0_generalILj128ELj64ELb0E21rocsparse_complex_numIdEEEv20rocsparse_direction_iPKiS5_PT2_S5_iPiS5_S8_21rocsparse_index_base_imNS_24const_host_device_scalarIfEENSA_IdEENSA_IS6_EEb: ; @_ZN9rocsparseL15bsrilu0_generalILj128ELj64ELb0E21rocsparse_complex_numIdEEEv20rocsparse_direction_iPKiS5_PT2_S5_iPiS5_S8_21rocsparse_index_base_imNS_24const_host_device_scalarIfEENSA_IdEENSA_IS6_EEb
; %bb.0:
	s_clause 0x2
	s_load_b96 s[4:6], s[0:1], 0x70
	s_load_b64 s[24:25], s[0:1], 0x48
	s_load_b256 s[16:23], s[0:1], 0x50
	s_wait_kmcnt 0x0
	s_bitcmp1_b32 s6, 0
	s_cselect_b32 s2, -1, 0
	s_cmp_eq_u32 s25, 0
	v_mov_b64_e32 v[2:3], s[22:23]
	s_cselect_b32 s6, -1, 0
	s_cmp_lg_u32 s25, 0
	s_cselect_b32 s3, -1, 0
	s_or_b32 s9, s6, s2
	s_delay_alu instid0(SALU_CYCLE_1)
	s_xor_b32 s8, s9, -1
	s_and_b32 s6, s6, exec_lo
	s_cselect_b32 s7, 0, s21
	s_cselect_b32 s6, 0, s20
	;; [unrolled: 1-line block ×3, first 2 shown]
	s_and_b32 vcc_lo, exec_lo, s9
	scratch_store_b64 off, v[2:3], off offset:32
	s_cbranch_vccnz .LBB26_2
; %bb.1:
	s_load_b32 s25, s[18:19], 0x0
	s_mov_b64 s[6:7], s[20:21]
.LBB26_2:
	s_delay_alu instid0(SALU_CYCLE_1)
	v_mov_b64_e32 v[18:19], s[6:7]
	s_and_not1_b32 vcc_lo, exec_lo, s8
	s_cbranch_vccnz .LBB26_4
; %bb.3:
	v_mov_b32_e32 v1, 0
	flat_load_b64 v[18:19], v1, s[20:21]
.LBB26_4:
	s_wait_xcnt 0x0
	v_mov_b64_e32 v[2:3], 0
	v_mov_b64_e32 v[4:5], 0
	v_cndmask_b32_e64 v28, 0, 1, s3
	s_and_not1_b32 vcc_lo, exec_lo, s3
	s_cbranch_vccnz .LBB26_7
; %bb.5:
	v_mbcnt_lo_u32_b32 v1, -1, 0
	v_mov_b32_e32 v2, 32
	v_mov_b64_e32 v[4:5], s[4:5]
	s_delay_alu instid0(VALU_DEP_3) | instskip(NEXT) | instid1(VALU_DEP_1)
	v_lshlrev_b32_e32 v3, 20, v1
	v_add_nc_u64_e32 v[2:3], src_flat_scratch_base_lo, v[2:3]
	s_delay_alu instid0(VALU_DEP_1) | instskip(NEXT) | instid1(VALU_DEP_2)
	v_cndmask_b32_e64 v3, s23, v3, s2
	v_cndmask_b32_e64 v2, s22, v2, s2
	s_xor_b32 s2, s2, -1
	s_delay_alu instid0(SALU_CYCLE_1)
	s_and_not1_b32 vcc_lo, exec_lo, s2
	flat_load_b64 v[2:3], v[2:3]
	s_cbranch_vccnz .LBB26_7
; %bb.6:
	v_mov_b32_e32 v1, 0
	flat_load_b64 v[4:5], v1, s[22:23] offset:8
.LBB26_7:
	s_load_b64 s[18:19], s[0:1], 0x0
	s_bfe_u32 s2, ttmp6, 0x4000c
	s_and_b32 s3, ttmp6, 15
	s_add_co_i32 s2, s2, 1
	s_getreg_b32 s4, hwreg(HW_REG_IB_STS2, 6, 4)
	s_mul_i32 s2, ttmp9, s2
	v_lshrrev_b32_e32 v1, 6, v0
	s_add_co_i32 s3, s3, s2
	s_cmp_eq_u32 s4, 0
	s_wait_loadcnt_dscnt 0x0
	scratch_store_b128 off, v[2:5], off
	s_cselect_b32 s2, ttmp9, s3
	s_delay_alu instid0(SALU_CYCLE_1) | instskip(NEXT) | instid1(SALU_CYCLE_1)
	s_lshl_b32 s2, s2, 1
	v_and_or_b32 v1, 0x3fffffe, s2, v1
	s_mov_b32 s2, exec_lo
	s_wait_kmcnt 0x0
	s_delay_alu instid0(VALU_DEP_1)
	v_cmpx_gt_i32_e64 s19, v1
	s_cbranch_execz .LBB26_146
; %bb.8:
	s_clause 0x2
	s_load_b128 s[20:23], s[0:1], 0x30
	s_load_b64 s[6:7], s[0:1], 0x40
	s_load_b256 s[8:15], s[0:1], 0x8
	v_and_b32_e32 v26, 63, v0
	s_mov_b32 s2, -1
	s_mov_b32 s5, exec_lo
	s_wait_kmcnt 0x0
	global_load_b32 v16, v1, s[22:23] scale_offset
	s_wait_loadcnt 0x0
	global_load_b32 v29, v16, s[14:15] scale_offset
	v_ashrrev_i32_e32 v17, 31, v16
	s_wait_loadcnt 0x0
	v_cmpx_ne_u32_e32 -1, v29
	s_cbranch_execz .LBB26_140
; %bb.9:
	s_delay_alu instid0(VALU_DEP_2)
	v_lshl_add_u64 v[0:1], v[16:17], 2, s[8:9]
	s_load_b32 s22, s[0:1], 0x28
	s_mov_b32 s2, 0
	s_mov_b32 s23, exec_lo
	global_load_b64 v[0:1], v[0:1], off
	s_wait_loadcnt 0x0
	v_subrev_nc_u32_e32 v30, s24, v0
	v_subrev_nc_u32_e32 v27, s24, v1
	s_wait_xcnt 0x0
	s_delay_alu instid0(VALU_DEP_2)
	v_cmpx_lt_i32_e64 v30, v29
	s_cbranch_execz .LBB26_75
; %bb.10:
	s_wait_kmcnt 0x0
	v_mad_u32 v0, s22, v30, v26
	s_cmp_gt_i32 s22, 0
	v_cmp_gt_i32_e64 s0, s22, v26
	v_cmp_le_i32_e64 s1, s22, v26
	s_cselect_b32 s27, -1, 0
	s_cmp_lg_u32 s18, 0
	s_mov_b32 s34, 0
	s_mul_i32 s26, s22, s22
	s_cselect_b32 s28, -1, 0
	s_add_co_i32 s19, s19, 1
	s_add_co_i32 s29, s22, 1
	v_mul_lo_u32 v31, s22, v0
	v_add_nc_u32_e32 v20, v30, v26
	s_lshl_b32 s30, s22, 6
	s_add_co_i32 s31, s22, -1
	s_mov_b32 s33, 0
                                        ; implicit-def: $sgpr35
                                        ; implicit-def: $sgpr36
	s_delay_alu instid0(VALU_DEP_1) | instskip(NEXT) | instid1(VALU_DEP_1)
	v_ashrrev_i32_e32 v21, 31, v20
	v_lshl_add_u64 v[22:23], v[20:21], 2, s[10:11]
	s_delay_alu instid0(VALU_DEP_4)
	v_add_nc_u32_e32 v21, 1, v31
	v_cmp_lt_i32_e64 s2, v20, v27
	s_branch .LBB26_13
.LBB26_11:                              ;   in Loop: Header=BB26_13 Depth=1
	s_or_b32 exec_lo, exec_lo, s4
	s_delay_alu instid0(SALU_CYCLE_1) | instskip(SKIP_1) | instid1(SALU_CYCLE_1)
	s_and_not1_b32 s4, s36, exec_lo
	s_and_b32 s34, s34, exec_lo
	s_or_b32 s36, s4, s34
.LBB26_12:                              ;   in Loop: Header=BB26_13 Depth=1
	s_or_b32 exec_lo, exec_lo, s37
	v_dual_add_nc_u32 v30, 1, v30 :: v_dual_add_nc_u32 v21, s26, v21
	s_xor_b32 s3, s3, -1
	v_add_nc_u32_e32 v31, s26, v31
	s_mov_b32 s34, s36
	s_delay_alu instid0(VALU_DEP_2) | instskip(SKIP_1) | instid1(SALU_CYCLE_1)
	v_cmp_ge_i32_e32 vcc_lo, v30, v29
	s_or_b32 s3, s3, vcc_lo
	s_and_b32 s3, exec_lo, s3
	s_delay_alu instid0(SALU_CYCLE_1) | instskip(SKIP_2) | instid1(SALU_CYCLE_1)
	s_or_b32 s33, s3, s33
	s_and_not1_b32 s3, s35, exec_lo
	s_and_b32 s4, s36, exec_lo
	s_or_b32 s35, s3, s4
	s_and_not1_b32 exec_lo, exec_lo, s33
	s_cbranch_execz .LBB26_74
.LBB26_13:                              ; =>This Loop Header: Depth=1
                                        ;     Child Loop BB26_16 Depth 2
                                        ;     Child Loop BB26_21 Depth 2
                                        ;       Child Loop BB26_26 Depth 3
                                        ;         Child Loop BB26_35 Depth 4
                                        ;     Child Loop BB26_48 Depth 2
                                        ;       Child Loop BB26_53 Depth 3
                                        ;       Child Loop BB26_60 Depth 3
                                        ;         Child Loop BB26_62 Depth 4
                                        ;           Child Loop BB26_64 Depth 5
	s_wait_dscnt 0x0
	global_load_b32 v0, v30, s[10:11] scale_offset
	s_or_b32 s36, s36, exec_lo
	s_wait_loadcnt 0x0
	v_subrev_nc_u32_e32 v0, s24, v0
	global_load_b32 v33, v0, s[14:15] scale_offset
	s_wait_loadcnt 0x0
	v_cmp_ne_u32_e64 s3, -1, v33
	s_wait_xcnt 0x0
	s_and_saveexec_b32 s37, s3
	s_cbranch_execz .LBB26_12
; %bb.14:                               ;   in Loop: Header=BB26_13 Depth=1
	v_ashrrev_i32_e32 v1, 31, v0
	s_mov_b32 s4, exec_lo
	s_delay_alu instid0(VALU_DEP_1) | instskip(NEXT) | instid1(VALU_DEP_1)
	v_lshlrev_b64_e32 v[0:1], 2, v[0:1]
	v_add_nc_u64_e32 v[2:3], s[8:9], v[0:1]
	v_add_nc_u64_e32 v[0:1], s[20:21], v[0:1]
	global_load_b32 v34, v[2:3], off offset:4
	global_load_b32 v4, v[0:1], off scope:SCOPE_DEV
	s_wait_loadcnt 0x0
	s_wait_xcnt 0x0
	v_cmpx_eq_u32_e32 0, v4
	s_cbranch_execz .LBB26_17
; %bb.15:                               ;   in Loop: Header=BB26_13 Depth=1
	s_mov_b32 s38, 0
.LBB26_16:                              ;   Parent Loop BB26_13 Depth=1
                                        ; =>  This Inner Loop Header: Depth=2
	global_load_b32 v2, v[0:1], off scope:SCOPE_DEV
	s_wait_loadcnt 0x0
	v_cmp_ne_u32_e32 vcc_lo, 0, v2
	s_or_b32 s38, vcc_lo, s38
	s_wait_xcnt 0x0
	s_and_not1_b32 exec_lo, exec_lo, s38
	s_cbranch_execnz .LBB26_16
.LBB26_17:                              ;   in Loop: Header=BB26_13 Depth=1
	s_or_b32 exec_lo, exec_lo, s4
	v_mul_lo_u32 v32, v30, s22
	s_and_not1_b32 vcc_lo, exec_lo, s27
	s_wait_storecnt 0x0
	global_inv scope:SCOPE_DEV
	s_cbranch_vccnz .LBB26_44
; %bb.18:                               ;   in Loop: Header=BB26_13 Depth=1
	v_mul_lo_u32 v35, v33, s22
	v_mad_u32 v36, s26, v33, 1
	v_dual_mov_b32 v37, 0 :: v_dual_mov_b32 v38, v21
	s_mov_b32 s38, 0
	s_mov_b32 s39, s31
	s_branch .LBB26_21
.LBB26_19:                              ;   in Loop: Header=BB26_21 Depth=2
	s_or_b32 exec_lo, exec_lo, s41
	v_mov_b32_e32 v37, v39
.LBB26_20:                              ;   in Loop: Header=BB26_21 Depth=2
	s_or_b32 exec_lo, exec_lo, s40
	s_delay_alu instid0(VALU_DEP_1) | instskip(SKIP_3) | instid1(SALU_CYCLE_1)
	v_cmp_eq_u32_e32 vcc_lo, s22, v37
	v_dual_add_nc_u32 v36, s29, v36 :: v_dual_add_nc_u32 v38, 1, v38
	s_add_co_i32 s39, s39, -1
	s_or_b32 s38, vcc_lo, s38
	s_and_not1_b32 exec_lo, exec_lo, s38
	s_cbranch_execz .LBB26_43
.LBB26_21:                              ;   Parent Loop BB26_13 Depth=1
                                        ; =>  This Loop Header: Depth=2
                                        ;       Child Loop BB26_26 Depth 3
                                        ;         Child Loop BB26_35 Depth 4
	s_delay_alu instid0(VALU_DEP_1) | instskip(SKIP_1) | instid1(SALU_CYCLE_1)
	v_add_nc_u32_e32 v39, 1, v37
	s_and_saveexec_b32 s4, s1
	s_xor_b32 s4, exec_lo, s4
; %bb.22:                               ;   in Loop: Header=BB26_21 Depth=2
	v_add_nc_u32_e32 v37, 1, v37
                                        ; implicit-def: $vgpr39
; %bb.23:                               ;   in Loop: Header=BB26_21 Depth=2
	s_and_not1_saveexec_b32 s40, s4
	s_cbranch_execz .LBB26_20
; %bb.24:                               ;   in Loop: Header=BB26_21 Depth=2
	s_delay_alu instid0(VALU_DEP_1)
	v_add_nc_u32_e32 v0, v37, v35
	v_cmp_gt_i32_e64 s4, s22, v39
	v_mov_b32_e32 v42, v26
	s_mov_b32 s41, 0
	v_mov_b32_e32 v41, v38
	v_mad_u32 v0, v0, s22, v37
	global_load_b128 v[0:3], v0, s[12:13] scale_offset
	s_wait_loadcnt 0x0
	v_mul_f64_e32 v[4:5], v[2:3], v[2:3]
	s_delay_alu instid0(VALU_DEP_1) | instskip(NEXT) | instid1(VALU_DEP_1)
	v_fmac_f64_e32 v[4:5], v[0:1], v[0:1]
	v_div_scale_f64 v[6:7], null, v[4:5], v[4:5], 1.0
	s_delay_alu instid0(VALU_DEP_1) | instskip(SKIP_1) | instid1(TRANS32_DEP_1)
	v_rcp_f64_e32 v[8:9], v[6:7]
	v_nop
	v_fma_f64 v[10:11], -v[6:7], v[8:9], 1.0
	s_delay_alu instid0(VALU_DEP_1) | instskip(NEXT) | instid1(VALU_DEP_1)
	v_fmac_f64_e32 v[8:9], v[8:9], v[10:11]
	v_fma_f64 v[10:11], -v[6:7], v[8:9], 1.0
	s_delay_alu instid0(VALU_DEP_1) | instskip(SKIP_1) | instid1(VALU_DEP_1)
	v_fmac_f64_e32 v[8:9], v[8:9], v[10:11]
	v_div_scale_f64 v[10:11], vcc_lo, 1.0, v[4:5], 1.0
	v_mul_f64_e32 v[12:13], v[10:11], v[8:9]
	s_delay_alu instid0(VALU_DEP_1) | instskip(NEXT) | instid1(VALU_DEP_1)
	v_fma_f64 v[6:7], -v[6:7], v[12:13], v[10:11]
	v_div_fmas_f64 v[6:7], v[6:7], v[8:9], v[12:13]
	s_delay_alu instid0(VALU_DEP_1) | instskip(SKIP_1) | instid1(VALU_DEP_1)
	v_div_fixup_f64 v[24:25], v[6:7], v[4:5], 1.0
	v_add_nc_u32_e32 v4, v37, v32
	v_mul_lo_u32 v40, v4, s22
	s_branch .LBB26_26
.LBB26_25:                              ;   in Loop: Header=BB26_26 Depth=3
	s_wait_xcnt 0x0
	s_or_b32 exec_lo, exec_lo, s42
	v_dual_add_nc_u32 v42, 64, v42 :: v_dual_add_nc_u32 v41, s30, v41
	s_delay_alu instid0(VALU_DEP_1) | instskip(SKIP_1) | instid1(SALU_CYCLE_1)
	v_cmp_le_i32_e32 vcc_lo, s22, v42
	s_or_b32 s41, vcc_lo, s41
	s_and_not1_b32 exec_lo, exec_lo, s41
	s_cbranch_execz .LBB26_19
.LBB26_26:                              ;   Parent Loop BB26_13 Depth=1
                                        ;     Parent Loop BB26_21 Depth=2
                                        ; =>    This Loop Header: Depth=3
                                        ;         Child Loop BB26_35 Depth 4
	s_delay_alu instid0(VALU_DEP_1)
	v_add_nc_u32_e32 v8, v42, v40
	s_and_b32 vcc_lo, exec_lo, s28
	s_cbranch_vccz .LBB26_41
; %bb.27:                               ;   in Loop: Header=BB26_26 Depth=3
	v_add_nc_u32_e32 v4, v42, v40
	v_add_nc_u32_e32 v5, v42, v32
	s_delay_alu instid0(VALU_DEP_1)
	v_mad_u32 v9, v5, s22, v37
	s_cbranch_execnz .LBB26_29
.LBB26_28:                              ;   in Loop: Header=BB26_26 Depth=3
	v_mad_u32 v4, v5, s22, v37
.LBB26_29:                              ;   in Loop: Header=BB26_26 Depth=3
	global_load_b128 v[4:7], v4, s[12:13] scale_offset
	s_and_b32 vcc_lo, exec_lo, s28
	s_cbranch_vccz .LBB26_42
; %bb.30:                               ;   in Loop: Header=BB26_26 Depth=3
	s_cbranch_execnz .LBB26_32
.LBB26_31:                              ;   in Loop: Header=BB26_26 Depth=3
	v_mov_b32_e32 v8, v9
.LBB26_32:                              ;   in Loop: Header=BB26_26 Depth=3
	s_wait_loadcnt 0x0
	v_mul_f64_e32 v[10:11], v[2:3], v[6:7]
	v_mul_f64_e64 v[12:13], v[2:3], -v[4:5]
	s_delay_alu instid0(VALU_DEP_2) | instskip(NEXT) | instid1(VALU_DEP_2)
	v_fmac_f64_e32 v[10:11], v[4:5], v[0:1]
	v_fmac_f64_e32 v[12:13], v[6:7], v[0:1]
	s_wait_xcnt 0x0
	s_delay_alu instid0(VALU_DEP_2) | instskip(NEXT) | instid1(VALU_DEP_2)
	v_mul_f64_e32 v[4:5], v[24:25], v[10:11]
	v_mul_f64_e32 v[6:7], v[24:25], v[12:13]
	global_store_b128 v8, v[4:7], s[12:13] scale_offset
	s_wait_xcnt 0x0
	s_and_saveexec_b32 s42, s4
	s_cbranch_execz .LBB26_25
; %bb.33:                               ;   in Loop: Header=BB26_26 Depth=3
	v_dual_mov_b32 v43, v41 :: v_dual_mov_b32 v44, v36
	v_mov_b32_e32 v45, v39
	s_mov_b32 s43, s39
	s_branch .LBB26_35
.LBB26_34:                              ;   in Loop: Header=BB26_35 Depth=4
	s_wait_loadcnt 0x0
	s_wait_xcnt 0x0
	v_dual_fma_f64 v[12:13], -v[4:5], v[8:9], v[12:13] :: v_dual_add_nc_u32 v43, 1, v43
	v_fma_f64 v[8:9], -v[6:7], v[8:9], v[14:15]
	v_add_nc_u32_e32 v44, 1, v44
	s_add_co_i32 s43, s43, -1
	v_add_nc_u32_e32 v45, 1, v45
	s_cmp_eq_u32 s43, 0
	s_delay_alu instid0(VALU_DEP_4) | instskip(NEXT) | instid1(VALU_DEP_4)
	v_fmac_f64_e32 v[12:13], v[6:7], v[10:11]
	v_fma_f64 v[14:15], -v[4:5], v[10:11], v[8:9]
	global_store_b128 v46, v[12:15], s[12:13] scale_offset
	s_cbranch_scc1 .LBB26_25
.LBB26_35:                              ;   Parent Loop BB26_13 Depth=1
                                        ;     Parent Loop BB26_21 Depth=2
                                        ;       Parent Loop BB26_26 Depth=3
                                        ; =>      This Inner Loop Header: Depth=4
	s_delay_alu instid0(VALU_DEP_2)
	v_mov_b32_e32 v8, v44
	s_and_not1_b32 vcc_lo, exec_lo, s28
	s_cbranch_vccnz .LBB26_37
; %bb.36:                               ;   in Loop: Header=BB26_35 Depth=4
	v_add_nc_u32_e32 v8, v45, v35
	s_delay_alu instid0(VALU_DEP_1)
	v_mad_u32 v8, v8, s22, v37
.LBB26_37:                              ;   in Loop: Header=BB26_35 Depth=4
	global_load_b128 v[8:11], v8, s[12:13] scale_offset
	s_wait_xcnt 0x1
	v_dual_mov_b32 v13, v43 :: v_dual_add_nc_u32 v12, v45, v32
	s_and_not1_b32 vcc_lo, exec_lo, s28
	s_delay_alu instid0(VALU_DEP_1)
	v_mad_u32 v47, v12, s22, v42
	s_cbranch_vccnz .LBB26_39
; %bb.38:                               ;   in Loop: Header=BB26_35 Depth=4
	v_mad_u32 v13, v12, s22, v42
.LBB26_39:                              ;   in Loop: Header=BB26_35 Depth=4
	global_load_b128 v[12:15], v13, s[12:13] scale_offset
	v_mov_b32_e32 v46, v43
	s_and_not1_b32 vcc_lo, exec_lo, s28
	s_cbranch_vccnz .LBB26_34
; %bb.40:                               ;   in Loop: Header=BB26_35 Depth=4
	v_mov_b32_e32 v46, v47
	s_branch .LBB26_34
.LBB26_41:                              ;   in Loop: Header=BB26_26 Depth=3
                                        ; implicit-def: $vgpr4
	v_add_nc_u32_e32 v5, v42, v32
	s_delay_alu instid0(VALU_DEP_1)
	v_mad_u32 v9, v5, s22, v37
	s_branch .LBB26_28
.LBB26_42:                              ;   in Loop: Header=BB26_26 Depth=3
                                        ; implicit-def: $vgpr8
	s_branch .LBB26_31
.LBB26_43:                              ;   in Loop: Header=BB26_13 Depth=1
	s_or_b32 exec_lo, exec_lo, s38
.LBB26_44:                              ;   in Loop: Header=BB26_13 Depth=1
	v_subrev_nc_u32_e32 v8, s24, v34
	v_add_nc_u32_e32 v9, 1, v33
	s_mov_b32 s4, exec_lo
	s_delay_alu instid0(VALU_DEP_1)
	v_cmpx_lt_i32_e64 v9, v8
	s_cbranch_execz .LBB26_11
; %bb.45:                               ;   in Loop: Header=BB26_13 Depth=1
	v_mul_lo_u32 v10, s26, v9
	s_mov_b32 s38, 0
	s_branch .LBB26_48
.LBB26_46:                              ;   in Loop: Header=BB26_48 Depth=2
	s_or_b32 exec_lo, exec_lo, s39
.LBB26_47:                              ;   in Loop: Header=BB26_48 Depth=2
	v_dual_add_nc_u32 v9, 1, v9 :: v_dual_add_nc_u32 v10, s26, v10
	s_delay_alu instid0(VALU_DEP_1) | instskip(SKIP_1) | instid1(SALU_CYCLE_1)
	v_cmp_ge_i32_e32 vcc_lo, v9, v8
	s_or_b32 s38, vcc_lo, s38
	s_and_not1_b32 exec_lo, exec_lo, s38
	s_cbranch_execz .LBB26_11
.LBB26_48:                              ;   Parent Loop BB26_13 Depth=1
                                        ; =>  This Loop Header: Depth=2
                                        ;       Child Loop BB26_53 Depth 3
                                        ;       Child Loop BB26_60 Depth 3
                                        ;         Child Loop BB26_62 Depth 4
                                        ;           Child Loop BB26_64 Depth 5
	s_wait_dscnt 0x0
	global_load_b32 v0, v9, s[10:11] scale_offset
	v_mov_b32_e32 v1, s19
	s_wait_xcnt 0x0
	s_and_saveexec_b32 s39, s2
	s_cbranch_execz .LBB26_50
; %bb.49:                               ;   in Loop: Header=BB26_48 Depth=2
	global_load_b32 v1, v[22:23], off
	s_wait_loadcnt 0x0
	v_subrev_nc_u32_e32 v1, s24, v1
.LBB26_50:                              ;   in Loop: Header=BB26_48 Depth=2
	s_wait_xcnt 0x0
	s_or_b32 exec_lo, exec_lo, s39
	s_wait_loadcnt 0x0
	v_subrev_nc_u32_e32 v0, s24, v0
	v_mov_b32_e32 v2, v20
	s_mov_b32 s39, exec_lo
	s_delay_alu instid0(VALU_DEP_2)
	v_cmpx_lt_i32_e64 v1, v0
	s_cbranch_execz .LBB26_56
; %bb.51:                               ;   in Loop: Header=BB26_48 Depth=2
	v_mov_b32_e32 v3, v20
	s_mov_b32 s40, 0
	s_branch .LBB26_53
.LBB26_52:                              ;   in Loop: Header=BB26_53 Depth=3
	s_wait_xcnt 0x0
	s_or_b32 exec_lo, exec_lo, s41
	s_delay_alu instid0(VALU_DEP_1) | instskip(SKIP_2) | instid1(SALU_CYCLE_1)
	v_cmp_ge_i32_e32 vcc_lo, v1, v0
	v_mov_b32_e32 v3, v2
	s_or_b32 s40, vcc_lo, s40
	s_and_not1_b32 exec_lo, exec_lo, s40
	s_cbranch_execz .LBB26_55
.LBB26_53:                              ;   Parent Loop BB26_13 Depth=1
                                        ;     Parent Loop BB26_48 Depth=2
                                        ; =>    This Inner Loop Header: Depth=3
	s_delay_alu instid0(VALU_DEP_1) | instskip(SKIP_1) | instid1(VALU_DEP_1)
	v_dual_mov_b32 v1, s19 :: v_dual_add_nc_u32 v2, 64, v3
	s_mov_b32 s41, exec_lo
	v_cmpx_lt_i32_e64 v2, v27
	s_cbranch_execz .LBB26_52
; %bb.54:                               ;   in Loop: Header=BB26_53 Depth=3
	global_load_b32 v1, v3, s[10:11] offset:256 scale_offset
	s_wait_loadcnt 0x0
	v_subrev_nc_u32_e32 v1, s24, v1
	s_branch .LBB26_52
.LBB26_55:                              ;   in Loop: Header=BB26_48 Depth=2
	s_or_b32 exec_lo, exec_lo, s40
.LBB26_56:                              ;   in Loop: Header=BB26_48 Depth=2
	s_delay_alu instid0(SALU_CYCLE_1)
	s_or_b32 exec_lo, exec_lo, s39
	v_cmp_eq_u32_e32 vcc_lo, v1, v0
	s_cbranch_vccz .LBB26_47
; %bb.57:                               ;   in Loop: Header=BB26_48 Depth=2
	s_ctz_i32_b32 s39, vcc_lo
	s_delay_alu instid0(SALU_CYCLE_1) | instskip(NEXT) | instid1(SALU_CYCLE_1)
	s_lshl_b32 s39, s39, 2
	v_mov_b32_e32 v0, s39
	ds_bpermute_b32 v0, v0, v2
	s_and_saveexec_b32 s39, s0
	s_cbranch_execz .LBB26_46
; %bb.58:                               ;   in Loop: Header=BB26_48 Depth=2
	v_mul_lo_u32 v11, v9, s22
	s_wait_dscnt 0x0
	v_mul_lo_u32 v12, v0, s22
	v_dual_mov_b32 v13, v31 :: v_dual_mov_b32 v14, v26
	s_mov_b32 s40, 0
	s_branch .LBB26_60
.LBB26_59:                              ;   in Loop: Header=BB26_60 Depth=3
	v_dual_add_nc_u32 v14, 64, v14 :: v_dual_add_nc_u32 v13, s30, v13
	s_delay_alu instid0(VALU_DEP_1)
	v_cmp_le_i32_e32 vcc_lo, s22, v14
	s_or_b32 s40, vcc_lo, s40
	s_wait_xcnt 0x0
	s_and_not1_b32 exec_lo, exec_lo, s40
	s_cbranch_execz .LBB26_46
.LBB26_60:                              ;   Parent Loop BB26_13 Depth=1
                                        ;     Parent Loop BB26_48 Depth=2
                                        ; =>    This Loop Header: Depth=3
                                        ;         Child Loop BB26_62 Depth 4
                                        ;           Child Loop BB26_64 Depth 5
	s_delay_alu instid0(VALU_DEP_1) | instskip(SKIP_2) | instid1(VALU_DEP_2)
	v_add_nc_u32_e32 v0, v14, v12
	v_mov_b32_e32 v24, v10
	s_mov_b32 s41, 0
	v_mul_lo_u32 v15, v0, s22
	s_branch .LBB26_62
.LBB26_61:                              ;   in Loop: Header=BB26_62 Depth=4
	global_load_b128 v[34:37], v0, s[12:13] scale_offset
	s_add_co_i32 s41, s41, 1
	v_add_nc_u32_e32 v24, 1, v24
	s_cmp_eq_u32 s41, s22
	s_wait_loadcnt 0x0
	v_add_f64_e64 v[2:3], v[34:35], -v[4:5]
	v_add_f64_e64 v[4:5], v[36:37], -v[6:7]
	global_store_b128 v0, v[2:5], s[12:13] scale_offset
	s_cbranch_scc1 .LBB26_59
.LBB26_62:                              ;   Parent Loop BB26_13 Depth=1
                                        ;     Parent Loop BB26_48 Depth=2
                                        ;       Parent Loop BB26_60 Depth=3
                                        ; =>      This Loop Header: Depth=4
                                        ;           Child Loop BB26_64 Depth 5
	s_wait_xcnt 0x0
	v_dual_mov_b32 v33, v24 :: v_dual_add_nc_u32 v0, s41, v11
	v_mov_b64_e32 v[4:5], 0
	v_mov_b64_e32 v[6:7], 0
	s_mov_b32 s42, 0
	s_delay_alu instid0(VALU_DEP_3)
	v_mul_lo_u32 v25, v0, s22
	s_branch .LBB26_64
.LBB26_63:                              ;   in Loop: Header=BB26_64 Depth=5
	global_load_b128 v[34:37], v34, s[12:13] scale_offset
	v_add_nc_u32_e32 v33, s22, v33
	s_add_co_i32 s42, s42, 1
	s_delay_alu instid0(SALU_CYCLE_1) | instskip(SKIP_3) | instid1(VALU_DEP_2)
	s_cmp_eq_u32 s22, s42
	s_wait_loadcnt 0x0
	v_fmac_f64_e32 v[4:5], v[0:1], v[34:35]
	v_fmac_f64_e32 v[6:7], v[2:3], v[34:35]
	v_fma_f64 v[4:5], -v[2:3], v[36:37], v[4:5]
	s_delay_alu instid0(VALU_DEP_2)
	v_fmac_f64_e32 v[6:7], v[0:1], v[36:37]
	s_cbranch_scc1 .LBB26_70
.LBB26_64:                              ;   Parent Loop BB26_13 Depth=1
                                        ;     Parent Loop BB26_48 Depth=2
                                        ;       Parent Loop BB26_60 Depth=3
                                        ;         Parent Loop BB26_62 Depth=4
                                        ; =>        This Inner Loop Header: Depth=5
	s_and_b32 vcc_lo, exec_lo, s28
	s_cbranch_vccz .LBB26_69
; %bb.65:                               ;   in Loop: Header=BB26_64 Depth=5
	s_wait_xcnt 0x1
	v_add_nc_u32_e32 v0, s42, v32
	s_delay_alu instid0(VALU_DEP_1)
	v_mad_u32 v0, v0, s22, v14
	s_cbranch_execnz .LBB26_67
.LBB26_66:                              ;   in Loop: Header=BB26_64 Depth=5
	s_wait_xcnt 0x1
	v_add_nc_u32_e32 v0, s42, v13
.LBB26_67:                              ;   in Loop: Header=BB26_64 Depth=5
	global_load_b128 v[0:3], v0, s[12:13] scale_offset
	s_wait_xcnt 0x1
	v_mov_b32_e32 v34, v33
	s_and_not1_b32 vcc_lo, exec_lo, s28
	s_cbranch_vccnz .LBB26_63
; %bb.68:                               ;   in Loop: Header=BB26_64 Depth=5
	v_add_nc_u32_e32 v34, s42, v25
	s_branch .LBB26_63
.LBB26_69:                              ;   in Loop: Header=BB26_64 Depth=5
                                        ; implicit-def: $vgpr0
	s_branch .LBB26_66
.LBB26_70:                              ;   in Loop: Header=BB26_62 Depth=4
	s_and_b32 vcc_lo, exec_lo, s28
	s_cbranch_vccz .LBB26_72
; %bb.71:                               ;   in Loop: Header=BB26_62 Depth=4
	s_wait_xcnt 0x1
	v_add_nc_u32_e32 v0, s41, v12
	s_delay_alu instid0(VALU_DEP_1)
	v_mad_u32 v0, v0, s22, v14
	s_cbranch_execnz .LBB26_61
	s_branch .LBB26_73
.LBB26_72:                              ;   in Loop: Header=BB26_62 Depth=4
                                        ; implicit-def: $vgpr0
.LBB26_73:                              ;   in Loop: Header=BB26_62 Depth=4
	s_wait_xcnt 0x1
	v_add_nc_u32_e32 v0, s41, v15
	s_branch .LBB26_61
.LBB26_74:
	s_or_b32 exec_lo, exec_lo, s33
	s_delay_alu instid0(SALU_CYCLE_1)
	s_and_b32 s2, s35, exec_lo
.LBB26_75:
	s_or_b32 exec_lo, exec_lo, s23
	s_wait_dscnt 0x0
	global_load_b32 v0, v29, s[10:11] scale_offset
	s_wait_kmcnt 0x0
	s_cmp_gt_i32 s22, 0
	s_mov_b32 s8, 0
	s_cselect_b32 s3, -1, 0
	s_wait_loadcnt 0x0
	v_subrev_nc_u32_e32 v0, s24, v0
	s_delay_alu instid0(VALU_DEP_1)
	v_cmp_eq_u32_e32 vcc_lo, v0, v16
	s_and_b32 s0, s3, vcc_lo
	s_wait_xcnt 0x0
	s_and_saveexec_b32 s4, s0
	s_cbranch_execz .LBB26_115
; %bb.76:
	v_cvt_f64_f32_e32 v[0:1], s25
	v_mul_lo_u32 v22, v29, s22
	s_cmp_eq_u64 s[16:17], 8
	s_mul_i32 s0, s22, s22
	s_cselect_b32 vcc_lo, -1, 0
	s_cmp_lg_u32 s18, 0
	v_mad_u32 v23, v29, s0, 1
	s_cselect_b32 s9, -1, 0
	s_add_co_i32 s10, s22, 1
	v_cmp_eq_u32_e64 s0, 0, v26
	v_dual_mov_b32 v25, 0 :: v_dual_mov_b32 v30, 0
	s_delay_alu instid0(VALU_DEP_4) | instskip(SKIP_3) | instid1(VALU_DEP_1)
	v_add_nc_u32_e32 v2, v22, v26
	s_lshl_b32 s11, s22, 6
	s_add_co_i32 s14, s22, -1
	s_mov_b32 s16, s2
                                        ; implicit-def: $sgpr15
	v_mad_u32 v24, s22, v2, s10
	v_dual_cndmask_b32 v19, v1, v19 :: v_dual_cndmask_b32 v18, v0, v18
	s_branch .LBB26_78
.LBB26_77:                              ;   in Loop: Header=BB26_78 Depth=1
	s_or_b32 exec_lo, exec_lo, s1
	s_delay_alu instid0(VALU_DEP_1)
	v_cmp_eq_u32_e32 vcc_lo, s22, v32
	s_add_co_i32 s14, s14, -1
	v_dual_add_nc_u32 v23, s10, v23 :: v_dual_add_nc_u32 v24, s10, v24
	v_mov_b32_e32 v30, v32
	s_or_b32 s8, vcc_lo, s8
	s_and_not1_b32 s1, s15, exec_lo
	s_and_b32 s15, s16, exec_lo
	s_delay_alu instid0(SALU_CYCLE_1)
	s_or_b32 s15, s1, s15
	s_and_not1_b32 exec_lo, exec_lo, s8
	s_cbranch_execz .LBB26_114
.LBB26_78:                              ; =>This Loop Header: Depth=1
                                        ;     Child Loop BB26_94 Depth 2
                                        ;       Child Loop BB26_103 Depth 3
	v_add_nc_u32_e32 v0, v30, v22
	v_cmp_ne_u32_e32 vcc_lo, 1, v28
	s_mov_b32 s17, 0
	s_mov_b32 s19, 0
	s_mov_b32 s1, -1
	v_mul_lo_u32 v31, v0, s22
	s_and_b32 vcc_lo, exec_lo, vcc_lo
	s_delay_alu instid0(VALU_DEP_1)
	v_add_nc_u32_e32 v4, v31, v30
	global_load_b128 v[0:3], v4, s[12:13] scale_offset
	s_wait_loadcnt 0x0
	scratch_store_b128 off, v[0:3], off offset:16
	s_cbranch_vccz .LBB26_81
; %bb.79:                               ;   in Loop: Header=BB26_78 Depth=1
	s_and_b32 vcc_lo, exec_lo, s1
	s_cbranch_vccnz .LBB26_90
.LBB26_80:                              ;   in Loop: Header=BB26_78 Depth=1
                                        ; implicit-def: $vgpr32
	s_wait_xcnt 0x0
	s_and_saveexec_b32 s1, s19
	s_delay_alu instid0(SALU_CYCLE_1)
	s_xor_b32 s19, exec_lo, s1
	s_cbranch_execnz .LBB26_91
	s_branch .LBB26_112
.LBB26_81:                              ;   in Loop: Header=BB26_78 Depth=1
	v_cmp_gt_f64_e32 vcc_lo, 0, v[0:1]
	v_xor_b32_e32 v5, 0x80000000, v1
	v_mov_b32_e32 v6, v0
	v_xor_b32_e32 v8, 0x80000000, v3
	s_mov_b32 s1, exec_lo
                                        ; implicit-def: $vgpr10_vgpr11
	s_delay_alu instid0(VALU_DEP_3) | instskip(SKIP_1) | instid1(VALU_DEP_3)
	v_cndmask_b32_e32 v7, v1, v5, vcc_lo
	v_cmp_gt_f64_e32 vcc_lo, 0, v[2:3]
	v_dual_cndmask_b32 v9, v3, v8 :: v_dual_mov_b32 v8, v2
	s_wait_xcnt 0x0
	s_delay_alu instid0(VALU_DEP_1)
	v_cmpx_ngt_f64_e32 v[6:7], v[8:9]
	s_xor_b32 s1, exec_lo, s1
	s_cbranch_execz .LBB26_85
; %bb.82:                               ;   in Loop: Header=BB26_78 Depth=1
	v_mov_b64_e32 v[10:11], 0
	s_mov_b32 s19, exec_lo
	v_cmpx_neq_f64_e32 0, v[2:3]
	s_cbranch_execz .LBB26_84
; %bb.83:                               ;   in Loop: Header=BB26_78 Depth=1
	v_div_scale_f64 v[10:11], null, v[8:9], v[8:9], v[6:7]
	v_div_scale_f64 v[20:21], vcc_lo, v[6:7], v[8:9], v[6:7]
	s_delay_alu instid0(VALU_DEP_2) | instskip(SKIP_1) | instid1(TRANS32_DEP_1)
	v_rcp_f64_e32 v[12:13], v[10:11]
	v_nop
	v_fma_f64 v[14:15], -v[10:11], v[12:13], 1.0
	s_delay_alu instid0(VALU_DEP_1) | instskip(NEXT) | instid1(VALU_DEP_1)
	v_fmac_f64_e32 v[12:13], v[12:13], v[14:15]
	v_fma_f64 v[14:15], -v[10:11], v[12:13], 1.0
	s_delay_alu instid0(VALU_DEP_1) | instskip(NEXT) | instid1(VALU_DEP_1)
	v_fmac_f64_e32 v[12:13], v[12:13], v[14:15]
	v_mul_f64_e32 v[14:15], v[20:21], v[12:13]
	s_delay_alu instid0(VALU_DEP_1) | instskip(NEXT) | instid1(VALU_DEP_1)
	v_fma_f64 v[10:11], -v[10:11], v[14:15], v[20:21]
	v_div_fmas_f64 v[10:11], v[10:11], v[12:13], v[14:15]
	s_delay_alu instid0(VALU_DEP_1) | instskip(NEXT) | instid1(VALU_DEP_1)
	v_div_fixup_f64 v[6:7], v[10:11], v[8:9], v[6:7]
	v_fma_f64 v[6:7], v[6:7], v[6:7], 1.0
	s_delay_alu instid0(VALU_DEP_1) | instskip(SKIP_1) | instid1(VALU_DEP_1)
	v_cmp_gt_f64_e32 vcc_lo, 0x10000000, v[6:7]
	v_cndmask_b32_e64 v5, 0, 0x100, vcc_lo
	v_ldexp_f64 v[6:7], v[6:7], v5
	v_cndmask_b32_e64 v5, 0, 0xffffff80, vcc_lo
	s_delay_alu instid0(VALU_DEP_2) | instskip(SKIP_1) | instid1(TRANS32_DEP_1)
	v_rsq_f64_e32 v[10:11], v[6:7]
	v_cmp_class_f64_e64 vcc_lo, v[6:7], 0x260
	v_mul_f64_e32 v[12:13], v[6:7], v[10:11]
	v_mul_f64_e32 v[10:11], 0.5, v[10:11]
	s_delay_alu instid0(VALU_DEP_1) | instskip(NEXT) | instid1(VALU_DEP_1)
	v_fma_f64 v[14:15], -v[10:11], v[12:13], 0.5
	v_fmac_f64_e32 v[12:13], v[12:13], v[14:15]
	v_fmac_f64_e32 v[10:11], v[10:11], v[14:15]
	s_delay_alu instid0(VALU_DEP_2) | instskip(NEXT) | instid1(VALU_DEP_1)
	v_fma_f64 v[14:15], -v[12:13], v[12:13], v[6:7]
	v_fmac_f64_e32 v[12:13], v[14:15], v[10:11]
	s_delay_alu instid0(VALU_DEP_1) | instskip(NEXT) | instid1(VALU_DEP_1)
	v_fma_f64 v[14:15], -v[12:13], v[12:13], v[6:7]
	v_fmac_f64_e32 v[12:13], v[14:15], v[10:11]
	s_delay_alu instid0(VALU_DEP_1) | instskip(NEXT) | instid1(VALU_DEP_1)
	v_ldexp_f64 v[10:11], v[12:13], v5
	v_dual_cndmask_b32 v7, v11, v7 :: v_dual_cndmask_b32 v6, v10, v6
	s_delay_alu instid0(VALU_DEP_1)
	v_mul_f64_e32 v[10:11], v[8:9], v[6:7]
.LBB26_84:                              ;   in Loop: Header=BB26_78 Depth=1
	s_or_b32 exec_lo, exec_lo, s19
                                        ; implicit-def: $vgpr6_vgpr7
                                        ; implicit-def: $vgpr8_vgpr9
.LBB26_85:                              ;   in Loop: Header=BB26_78 Depth=1
	s_and_not1_saveexec_b32 s1, s1
	s_cbranch_execz .LBB26_87
; %bb.86:                               ;   in Loop: Header=BB26_78 Depth=1
	v_div_scale_f64 v[10:11], null, v[6:7], v[6:7], v[8:9]
	v_div_scale_f64 v[20:21], vcc_lo, v[8:9], v[6:7], v[8:9]
	s_delay_alu instid0(VALU_DEP_2) | instskip(SKIP_1) | instid1(TRANS32_DEP_1)
	v_rcp_f64_e32 v[12:13], v[10:11]
	v_nop
	v_fma_f64 v[14:15], -v[10:11], v[12:13], 1.0
	s_delay_alu instid0(VALU_DEP_1) | instskip(NEXT) | instid1(VALU_DEP_1)
	v_fmac_f64_e32 v[12:13], v[12:13], v[14:15]
	v_fma_f64 v[14:15], -v[10:11], v[12:13], 1.0
	s_delay_alu instid0(VALU_DEP_1) | instskip(NEXT) | instid1(VALU_DEP_1)
	v_fmac_f64_e32 v[12:13], v[12:13], v[14:15]
	v_mul_f64_e32 v[14:15], v[20:21], v[12:13]
	s_delay_alu instid0(VALU_DEP_1) | instskip(NEXT) | instid1(VALU_DEP_1)
	v_fma_f64 v[10:11], -v[10:11], v[14:15], v[20:21]
	v_div_fmas_f64 v[10:11], v[10:11], v[12:13], v[14:15]
	s_delay_alu instid0(VALU_DEP_1) | instskip(NEXT) | instid1(VALU_DEP_1)
	v_div_fixup_f64 v[8:9], v[10:11], v[6:7], v[8:9]
	v_fma_f64 v[8:9], v[8:9], v[8:9], 1.0
	s_delay_alu instid0(VALU_DEP_1) | instskip(SKIP_1) | instid1(VALU_DEP_1)
	v_cmp_gt_f64_e32 vcc_lo, 0x10000000, v[8:9]
	v_cndmask_b32_e64 v5, 0, 0x100, vcc_lo
	v_ldexp_f64 v[8:9], v[8:9], v5
	v_cndmask_b32_e64 v5, 0, 0xffffff80, vcc_lo
	s_delay_alu instid0(VALU_DEP_2) | instskip(SKIP_1) | instid1(TRANS32_DEP_1)
	v_rsq_f64_e32 v[10:11], v[8:9]
	v_cmp_class_f64_e64 vcc_lo, v[8:9], 0x260
	v_mul_f64_e32 v[12:13], v[8:9], v[10:11]
	v_mul_f64_e32 v[10:11], 0.5, v[10:11]
	s_delay_alu instid0(VALU_DEP_1) | instskip(NEXT) | instid1(VALU_DEP_1)
	v_fma_f64 v[14:15], -v[10:11], v[12:13], 0.5
	v_fmac_f64_e32 v[12:13], v[12:13], v[14:15]
	v_fmac_f64_e32 v[10:11], v[10:11], v[14:15]
	s_delay_alu instid0(VALU_DEP_2) | instskip(NEXT) | instid1(VALU_DEP_1)
	v_fma_f64 v[14:15], -v[12:13], v[12:13], v[8:9]
	v_fmac_f64_e32 v[12:13], v[14:15], v[10:11]
	s_delay_alu instid0(VALU_DEP_1) | instskip(NEXT) | instid1(VALU_DEP_1)
	v_fma_f64 v[14:15], -v[12:13], v[12:13], v[8:9]
	v_fmac_f64_e32 v[12:13], v[14:15], v[10:11]
	s_delay_alu instid0(VALU_DEP_1) | instskip(NEXT) | instid1(VALU_DEP_1)
	v_ldexp_f64 v[10:11], v[12:13], v5
	v_dual_cndmask_b32 v9, v11, v9 :: v_dual_cndmask_b32 v8, v10, v8
	s_delay_alu instid0(VALU_DEP_1)
	v_mul_f64_e32 v[10:11], v[6:7], v[8:9]
.LBB26_87:                              ;   in Loop: Header=BB26_78 Depth=1
	s_or_b32 exec_lo, exec_lo, s1
	s_delay_alu instid0(VALU_DEP_1)
	v_cmp_ge_f64_e32 vcc_lo, v[18:19], v[10:11]
	v_cndmask_b32_e32 v5, 16, v25, vcc_lo
	scratch_load_b128 v[6:9], v5, off
	s_wait_loadcnt 0x0
	scratch_store_b128 off, v[6:9], off offset:16
	s_wait_xcnt 0x0
	s_and_saveexec_b32 s1, s0
	s_cbranch_execz .LBB26_89
; %bb.88:                               ;   in Loop: Header=BB26_78 Depth=1
	scratch_load_b128 v[6:9], v5, off
	s_wait_xcnt 0x0
	v_ashrrev_i32_e32 v5, 31, v4
	s_delay_alu instid0(VALU_DEP_1)
	v_lshl_add_u64 v[4:5], v[4:5], 4, s[12:13]
	s_wait_loadcnt 0x0
	global_store_b128 v[4:5], v[6:9], off
.LBB26_89:                              ;   in Loop: Header=BB26_78 Depth=1
	s_wait_xcnt 0x0
	s_or_b32 exec_lo, exec_lo, s1
	s_mov_b32 s19, -1
	s_branch .LBB26_80
.LBB26_90:                              ;   in Loop: Header=BB26_78 Depth=1
	v_cmp_neq_f64_e32 vcc_lo, 0, v[0:1]
	v_cmp_neq_f64_e64 s1, 0, v[2:3]
	s_and_not1_b32 s19, s19, exec_lo
	s_mov_b32 s17, -1
	s_or_b32 s1, vcc_lo, s1
	s_delay_alu instid0(SALU_CYCLE_1) | instskip(NEXT) | instid1(SALU_CYCLE_1)
	s_and_b32 s1, s1, exec_lo
	s_or_b32 s19, s19, s1
                                        ; implicit-def: $vgpr32
	s_wait_xcnt 0x0
	s_and_saveexec_b32 s1, s19
	s_delay_alu instid0(SALU_CYCLE_1)
	s_xor_b32 s19, exec_lo, s1
	s_cbranch_execz .LBB26_112
.LBB26_91:                              ;   in Loop: Header=BB26_78 Depth=1
	v_add_nc_u32_e32 v32, 1, v30
	s_mov_b32 s23, exec_lo
	s_delay_alu instid0(VALU_DEP_1) | instskip(NEXT) | instid1(VALU_DEP_1)
	v_add_nc_u32_e32 v33, v32, v26
	v_cmpx_gt_i32_e64 s22, v33
	s_cbranch_execz .LBB26_111
; %bb.92:                               ;   in Loop: Header=BB26_78 Depth=1
	scratch_load_b128 v[0:3], off, off offset:16
	v_cmp_gt_i32_e64 s1, s22, v32
	s_mov_b32 s25, 0
	s_wait_loadcnt 0x0
	v_dual_mul_f64 v[4:5], v[2:3], v[2:3] :: v_dual_mov_b32 v34, v24
	s_delay_alu instid0(VALU_DEP_1) | instskip(NEXT) | instid1(VALU_DEP_1)
	v_fmac_f64_e32 v[4:5], v[0:1], v[0:1]
	v_div_scale_f64 v[6:7], null, v[4:5], v[4:5], 1.0
	s_delay_alu instid0(VALU_DEP_1) | instskip(SKIP_1) | instid1(TRANS32_DEP_1)
	v_rcp_f64_e32 v[8:9], v[6:7]
	v_nop
	v_fma_f64 v[10:11], -v[6:7], v[8:9], 1.0
	s_delay_alu instid0(VALU_DEP_1) | instskip(NEXT) | instid1(VALU_DEP_1)
	v_fmac_f64_e32 v[8:9], v[8:9], v[10:11]
	v_fma_f64 v[10:11], -v[6:7], v[8:9], 1.0
	s_delay_alu instid0(VALU_DEP_1) | instskip(SKIP_1) | instid1(VALU_DEP_1)
	v_fmac_f64_e32 v[8:9], v[8:9], v[10:11]
	v_div_scale_f64 v[10:11], vcc_lo, 1.0, v[4:5], 1.0
	v_mul_f64_e32 v[12:13], v[10:11], v[8:9]
	s_delay_alu instid0(VALU_DEP_1) | instskip(NEXT) | instid1(VALU_DEP_1)
	v_fma_f64 v[6:7], -v[6:7], v[12:13], v[10:11]
	v_div_fmas_f64 v[6:7], v[6:7], v[8:9], v[12:13]
	s_delay_alu instid0(VALU_DEP_1)
	v_div_fixup_f64 v[20:21], v[6:7], v[4:5], 1.0
	s_branch .LBB26_94
.LBB26_93:                              ;   in Loop: Header=BB26_94 Depth=2
	s_wait_xcnt 0x0
	s_or_b32 exec_lo, exec_lo, s26
	v_dual_add_nc_u32 v33, 64, v33 :: v_dual_add_nc_u32 v34, s11, v34
	s_delay_alu instid0(VALU_DEP_1) | instskip(SKIP_1) | instid1(SALU_CYCLE_1)
	v_cmp_le_i32_e32 vcc_lo, s22, v33
	s_or_b32 s25, vcc_lo, s25
	s_and_not1_b32 exec_lo, exec_lo, s25
	s_cbranch_execz .LBB26_111
.LBB26_94:                              ;   Parent Loop BB26_78 Depth=1
                                        ; =>  This Loop Header: Depth=2
                                        ;       Child Loop BB26_103 Depth 3
	v_add_nc_u32_e32 v8, v33, v31
	s_and_b32 vcc_lo, exec_lo, s9
	s_cbranch_vccz .LBB26_109
; %bb.95:                               ;   in Loop: Header=BB26_94 Depth=2
	v_add_nc_u32_e32 v4, v33, v31
	s_cbranch_execnz .LBB26_97
.LBB26_96:                              ;   in Loop: Header=BB26_94 Depth=2
	v_add_nc_u32_e32 v4, v33, v22
	s_delay_alu instid0(VALU_DEP_1)
	v_mad_u32 v4, v4, s22, v30
.LBB26_97:                              ;   in Loop: Header=BB26_94 Depth=2
	global_load_b128 v[4:7], v4, s[12:13] scale_offset
	s_and_b32 vcc_lo, exec_lo, s9
	s_cbranch_vccz .LBB26_110
; %bb.98:                               ;   in Loop: Header=BB26_94 Depth=2
	s_cbranch_execnz .LBB26_100
.LBB26_99:                              ;   in Loop: Header=BB26_94 Depth=2
	v_add_nc_u32_e32 v8, v33, v22
	s_delay_alu instid0(VALU_DEP_1)
	v_mad_u32 v8, v8, s22, v30
.LBB26_100:                             ;   in Loop: Header=BB26_94 Depth=2
	s_wait_loadcnt 0x0
	v_mul_f64_e32 v[10:11], v[2:3], v[6:7]
	v_mul_f64_e64 v[12:13], v[2:3], -v[4:5]
	s_delay_alu instid0(VALU_DEP_2) | instskip(NEXT) | instid1(VALU_DEP_2)
	v_fmac_f64_e32 v[10:11], v[4:5], v[0:1]
	v_fmac_f64_e32 v[12:13], v[6:7], v[0:1]
	s_wait_xcnt 0x0
	s_delay_alu instid0(VALU_DEP_2) | instskip(NEXT) | instid1(VALU_DEP_2)
	v_mul_f64_e32 v[4:5], v[20:21], v[10:11]
	v_mul_f64_e32 v[6:7], v[20:21], v[12:13]
	global_store_b128 v8, v[4:7], s[12:13] scale_offset
	s_wait_xcnt 0x0
	s_and_saveexec_b32 s26, s1
	s_cbranch_execz .LBB26_93
; %bb.101:                              ;   in Loop: Header=BB26_94 Depth=2
	v_dual_mov_b32 v35, v34 :: v_dual_mov_b32 v36, v23
	v_mov_b32_e32 v37, v32
	s_mov_b32 s27, s14
	s_branch .LBB26_103
.LBB26_102:                             ;   in Loop: Header=BB26_103 Depth=3
	s_wait_loadcnt 0x0
	v_dual_fma_f64 v[12:13], -v[4:5], v[8:9], v[12:13] :: v_dual_add_nc_u32 v35, 1, v35
	v_fma_f64 v[8:9], -v[6:7], v[8:9], v[14:15]
	v_add_nc_u32_e32 v36, 1, v36
	s_add_co_i32 s27, s27, -1
	v_add_nc_u32_e32 v37, 1, v37
	s_cmp_eq_u32 s27, 0
	s_delay_alu instid0(VALU_DEP_4) | instskip(NEXT) | instid1(VALU_DEP_4)
	v_fmac_f64_e32 v[12:13], v[6:7], v[10:11]
	v_fma_f64 v[14:15], -v[4:5], v[10:11], v[8:9]
	global_store_b128 v38, v[12:15], s[12:13] scale_offset
	s_cbranch_scc1 .LBB26_93
.LBB26_103:                             ;   Parent Loop BB26_78 Depth=1
                                        ;     Parent Loop BB26_94 Depth=2
                                        ; =>    This Inner Loop Header: Depth=3
	s_wait_xcnt 0x0
	s_delay_alu instid0(VALU_DEP_1)
	v_dual_add_nc_u32 v12, v37, v22 :: v_dual_mov_b32 v8, v36
	s_and_not1_b32 vcc_lo, exec_lo, s9
	s_cbranch_vccnz .LBB26_105
; %bb.104:                              ;   in Loop: Header=BB26_103 Depth=3
	s_delay_alu instid0(VALU_DEP_1)
	v_mad_u32 v8, v12, s22, v30
.LBB26_105:                             ;   in Loop: Header=BB26_103 Depth=3
	global_load_b128 v[8:11], v8, s[12:13] scale_offset
	v_mad_u32 v39, v12, s22, v33
	v_mov_b32_e32 v13, v35
	s_and_not1_b32 vcc_lo, exec_lo, s9
	s_cbranch_vccnz .LBB26_107
; %bb.106:                              ;   in Loop: Header=BB26_103 Depth=3
	v_mad_u32 v13, v12, s22, v33
.LBB26_107:                             ;   in Loop: Header=BB26_103 Depth=3
	global_load_b128 v[12:15], v13, s[12:13] scale_offset
	v_mov_b32_e32 v38, v35
	s_and_not1_b32 vcc_lo, exec_lo, s9
	s_cbranch_vccnz .LBB26_102
; %bb.108:                              ;   in Loop: Header=BB26_103 Depth=3
	v_mov_b32_e32 v38, v39
	s_branch .LBB26_102
.LBB26_109:                             ;   in Loop: Header=BB26_94 Depth=2
                                        ; implicit-def: $vgpr4
	s_branch .LBB26_96
.LBB26_110:                             ;   in Loop: Header=BB26_94 Depth=2
                                        ; implicit-def: $vgpr8
	s_branch .LBB26_99
.LBB26_111:                             ;   in Loop: Header=BB26_78 Depth=1
	s_or_b32 exec_lo, exec_lo, s23
	s_delay_alu instid0(SALU_CYCLE_1)
	s_and_not1_b32 s17, s17, exec_lo
.LBB26_112:                             ;   in Loop: Header=BB26_78 Depth=1
	s_or_b32 exec_lo, exec_lo, s19
	s_delay_alu instid0(SALU_CYCLE_1) | instskip(SKIP_1) | instid1(SALU_CYCLE_1)
	s_and_not1_b32 s1, s16, exec_lo
	s_and_b32 s16, s16, exec_lo
	s_or_b32 s16, s1, s16
	s_and_saveexec_b32 s1, s17
	s_cbranch_execz .LBB26_77
; %bb.113:                              ;   in Loop: Header=BB26_78 Depth=1
	v_add_nc_u32_e32 v32, 1, v30
	s_or_b32 s16, s16, exec_lo
	s_branch .LBB26_77
.LBB26_114:
	s_or_b32 exec_lo, exec_lo, s8
	s_delay_alu instid0(SALU_CYCLE_1) | instskip(SKIP_1) | instid1(SALU_CYCLE_1)
	s_and_not1_b32 s0, s2, exec_lo
	s_and_b32 s1, s15, exec_lo
	s_or_b32 s2, s0, s1
.LBB26_115:
	s_or_b32 exec_lo, exec_lo, s4
	v_add_nc_u32_e32 v12, 1, v29
	s_mov_b32 s1, exec_lo
	s_delay_alu instid0(VALU_DEP_1)
	v_cmpx_lt_i32_e64 v12, v27
	s_cbranch_execz .LBB26_139
; %bb.116:
	v_mul_lo_u32 v13, v29, s22
	s_mul_i32 s4, s22, s22
	v_cmp_gt_i32_e64 s0, s22, v26
	v_mul_lo_u32 v0, s4, v12
	s_cmp_lg_u32 s18, 0
	s_mov_b32 s8, 0
	s_cselect_b32 s9, -1, 0
	s_add_co_i32 s10, s22, 1
	s_add_co_i32 s11, s22, -1
	v_mad_u32 v14, s22, v13, s22
	s_delay_alu instid0(VALU_DEP_2)
	v_add3_u32 v15, v0, s22, v26
	s_branch .LBB26_118
.LBB26_117:                             ;   in Loop: Header=BB26_118 Depth=1
	s_delay_alu instid0(VALU_DEP_1) | instskip(NEXT) | instid1(VALU_DEP_1)
	v_dual_add_nc_u32 v12, 1, v12 :: v_dual_add_nc_u32 v15, s4, v15
	v_cmp_ge_i32_e32 vcc_lo, v12, v27
	s_or_b32 s8, vcc_lo, s8
	s_delay_alu instid0(SALU_CYCLE_1)
	s_and_not1_b32 exec_lo, exec_lo, s8
	s_cbranch_execz .LBB26_139
.LBB26_118:                             ; =>This Loop Header: Depth=1
                                        ;     Child Loop BB26_121 Depth 2
                                        ;       Child Loop BB26_124 Depth 3
                                        ;         Child Loop BB26_127 Depth 4
	s_and_not1_b32 vcc_lo, exec_lo, s3
	s_cbranch_vccnz .LBB26_117
; %bb.119:                              ;   in Loop: Header=BB26_118 Depth=1
	v_mul_lo_u32 v18, v12, s22
	s_delay_alu instid0(VALU_DEP_3)
	v_dual_mov_b32 v19, v15 :: v_dual_mov_b32 v20, v14
	s_mov_b32 s15, 0
	s_mov_b32 s14, s11
	s_branch .LBB26_121
.LBB26_120:                             ;   in Loop: Header=BB26_121 Depth=2
	s_or_b32 exec_lo, exec_lo, s17
	v_dual_add_nc_u32 v20, s10, v20 :: v_dual_add_nc_u32 v19, s22, v19
	s_add_co_i32 s14, s14, -1
	s_cmp_eq_u32 s16, s22
	s_mov_b32 s15, s16
	s_cbranch_scc1 .LBB26_117
.LBB26_121:                             ;   Parent Loop BB26_118 Depth=1
                                        ; =>  This Loop Header: Depth=2
                                        ;       Child Loop BB26_124 Depth 3
                                        ;         Child Loop BB26_127 Depth 4
	s_add_co_i32 s16, s15, 1
	s_and_saveexec_b32 s17, s0
	s_cbranch_execz .LBB26_120
; %bb.122:                              ;   in Loop: Header=BB26_121 Depth=2
	s_delay_alu instid0(VALU_DEP_2) | instskip(SKIP_2) | instid1(VALU_DEP_2)
	v_dual_add_nc_u32 v0, s15, v13 :: v_dual_add_nc_u32 v1, s15, v18
	v_dual_mov_b32 v23, v19 :: v_dual_mov_b32 v24, v26
	s_cmp_lt_i32 s16, s22
	v_mul_lo_u32 v21, v0, s22
	s_delay_alu instid0(VALU_DEP_3)
	v_mul_lo_u32 v22, v1, s22
	s_cselect_b32 s18, -1, 0
	s_mov_b32 s19, 0
	s_branch .LBB26_124
.LBB26_123:                             ;   in Loop: Header=BB26_124 Depth=3
	v_dual_add_nc_u32 v24, 64, v24 :: v_dual_add_nc_u32 v23, 64, v23
	s_delay_alu instid0(VALU_DEP_1)
	v_cmp_le_i32_e32 vcc_lo, s22, v24
	s_or_b32 s19, vcc_lo, s19
	s_wait_xcnt 0x0
	s_and_not1_b32 exec_lo, exec_lo, s19
	s_cbranch_execz .LBB26_120
.LBB26_124:                             ;   Parent Loop BB26_118 Depth=1
                                        ;     Parent Loop BB26_121 Depth=2
                                        ; =>    This Loop Header: Depth=3
                                        ;         Child Loop BB26_127 Depth 4
	s_and_not1_b32 vcc_lo, exec_lo, s18
	s_cbranch_vccnz .LBB26_123
; %bb.125:                              ;   in Loop: Header=BB26_124 Depth=3
	v_add_nc_u32_e32 v0, v24, v18
	s_delay_alu instid0(VALU_DEP_2) | instskip(SKIP_4) | instid1(VALU_DEP_1)
	v_add_nc_u32_e32 v29, v24, v22
	s_mov_b32 s23, 0
	s_mov_b32 s25, s14
	s_mov_b32 s26, s16
	v_mul_lo_u32 v25, v0, s22
	v_add_nc_u32_e32 v28, s15, v25
	s_branch .LBB26_127
.LBB26_126:                             ;   in Loop: Header=BB26_127 Depth=4
	s_wait_loadcnt 0x0
	v_fma_f64 v[8:9], -v[0:1], v[4:5], v[8:9]
	v_fma_f64 v[4:5], -v[2:3], v[4:5], v[10:11]
	s_add_co_i32 s25, s25, -1
	s_add_co_i32 s26, s26, 1
	s_add_co_i32 s23, s23, s22
	s_cmp_eq_u32 s25, 0
	s_delay_alu instid0(VALU_DEP_2) | instskip(NEXT) | instid1(VALU_DEP_2)
	v_fmac_f64_e32 v[8:9], v[2:3], v[6:7]
	v_fma_f64 v[10:11], -v[0:1], v[6:7], v[4:5]
	global_store_b128 v30, v[8:11], s[12:13] scale_offset
	s_cbranch_scc1 .LBB26_123
.LBB26_127:                             ;   Parent Loop BB26_118 Depth=1
                                        ;     Parent Loop BB26_121 Depth=2
                                        ;       Parent Loop BB26_124 Depth=3
                                        ; =>      This Inner Loop Header: Depth=4
	s_and_b32 vcc_lo, exec_lo, s9
	s_cbranch_vccz .LBB26_135
; %bb.128:                              ;   in Loop: Header=BB26_127 Depth=4
	s_wait_xcnt 0x0
	v_add_nc_u32_e32 v8, s26, v21
	v_mov_b32_e32 v9, v28
	s_cbranch_execnz .LBB26_130
.LBB26_129:                             ;   in Loop: Header=BB26_127 Depth=4
	v_dual_mov_b32 v9, v29 :: v_dual_add_nc_u32 v8, s23, v20
.LBB26_130:                             ;   in Loop: Header=BB26_127 Depth=4
	s_clause 0x1
	global_load_b128 v[0:3], v8, s[12:13] scale_offset
	global_load_b128 v[4:7], v9, s[12:13] scale_offset
	v_add_nc_u32_e32 v30, s26, v25
	s_and_b32 vcc_lo, exec_lo, s9
	s_cbranch_vccz .LBB26_136
; %bb.131:                              ;   in Loop: Header=BB26_127 Depth=4
	s_wait_xcnt 0x1
	v_add_nc_u32_e32 v8, s26, v25
	v_add_nc_u32_e32 v31, s23, v23
	s_cbranch_execnz .LBB26_133
.LBB26_132:                             ;   in Loop: Header=BB26_127 Depth=4
	s_wait_xcnt 0x1
	v_add_nc_u32_e32 v8, s23, v23
.LBB26_133:                             ;   in Loop: Header=BB26_127 Depth=4
	global_load_b128 v[8:11], v8, s[12:13] scale_offset
	s_and_b32 vcc_lo, exec_lo, s9
	s_cbranch_vccz .LBB26_137
; %bb.134:                              ;   in Loop: Header=BB26_127 Depth=4
	s_cbranch_execnz .LBB26_126
	s_branch .LBB26_138
.LBB26_135:                             ;   in Loop: Header=BB26_127 Depth=4
                                        ; implicit-def: $vgpr8
	s_wait_xcnt 0x0
	v_mov_b32_e32 v9, v28
	s_branch .LBB26_129
.LBB26_136:                             ;   in Loop: Header=BB26_127 Depth=4
                                        ; implicit-def: $vgpr8
	v_add_nc_u32_e32 v31, s23, v23
	s_branch .LBB26_132
.LBB26_137:                             ;   in Loop: Header=BB26_127 Depth=4
                                        ; implicit-def: $vgpr30
.LBB26_138:                             ;   in Loop: Header=BB26_127 Depth=4
	v_mov_b32_e32 v30, v31
	s_branch .LBB26_126
.LBB26_139:
	s_or_b32 exec_lo, exec_lo, s1
	s_delay_alu instid0(SALU_CYCLE_1)
	s_or_not1_b32 s2, s2, exec_lo
.LBB26_140:
	s_or_b32 exec_lo, exec_lo, s5
	v_cmp_eq_u32_e32 vcc_lo, 0, v26
	s_and_b32 exec_lo, exec_lo, vcc_lo
	s_cbranch_execz .LBB26_146
; %bb.141:
	v_lshl_add_u64 v[0:1], v[16:17], 2, s[20:21]
	v_mov_b32_e32 v2, 1
	global_wb scope:SCOPE_DEV
	s_wait_storecnt 0x0
	global_store_b32 v[0:1], v2, off scope:SCOPE_DEV
	s_wait_xcnt 0x0
	s_and_b32 exec_lo, exec_lo, s2
	s_cbranch_execz .LBB26_146
; %bb.142:
	v_add_nc_u32_e32 v0, s24, v16
	s_mov_b32 s1, exec_lo
	s_brev_b32 s0, -2
.LBB26_143:                             ; =>This Inner Loop Header: Depth=1
	s_ctz_i32_b32 s2, s1
	s_delay_alu instid0(VALU_DEP_1) | instid1(SALU_CYCLE_1)
	v_readlane_b32 s3, v0, s2
	s_lshl_b32 s2, 1, s2
	s_delay_alu instid0(SALU_CYCLE_1)
	s_and_not1_b32 s1, s1, s2
	s_min_i32 s0, s0, s3
	s_cmp_lg_u32 s1, 0
	s_cbranch_scc1 .LBB26_143
; %bb.144:
	v_mbcnt_lo_u32_b32 v0, exec_lo, 0
	s_mov_b32 s1, exec_lo
	s_delay_alu instid0(VALU_DEP_1)
	v_cmpx_eq_u32_e32 0, v0
	s_xor_b32 s1, exec_lo, s1
	s_cbranch_execz .LBB26_146
; %bb.145:
	v_dual_mov_b32 v0, 0 :: v_dual_mov_b32 v1, s0
	global_atomic_min_i32 v0, v1, s[6:7] scope:SCOPE_DEV
.LBB26_146:
	s_endpgm
	.section	.rodata,"a",@progbits
	.p2align	6, 0x0
	.amdhsa_kernel _ZN9rocsparseL15bsrilu0_generalILj128ELj64ELb0E21rocsparse_complex_numIdEEEv20rocsparse_direction_iPKiS5_PT2_S5_iPiS5_S8_21rocsparse_index_base_imNS_24const_host_device_scalarIfEENSA_IdEENSA_IS6_EEb
		.amdhsa_group_segment_fixed_size 0
		.amdhsa_private_segment_fixed_size 48
		.amdhsa_kernarg_size 124
		.amdhsa_user_sgpr_count 2
		.amdhsa_user_sgpr_dispatch_ptr 0
		.amdhsa_user_sgpr_queue_ptr 0
		.amdhsa_user_sgpr_kernarg_segment_ptr 1
		.amdhsa_user_sgpr_dispatch_id 0
		.amdhsa_user_sgpr_kernarg_preload_length 0
		.amdhsa_user_sgpr_kernarg_preload_offset 0
		.amdhsa_user_sgpr_private_segment_size 0
		.amdhsa_wavefront_size32 1
		.amdhsa_uses_dynamic_stack 0
		.amdhsa_enable_private_segment 1
		.amdhsa_system_sgpr_workgroup_id_x 1
		.amdhsa_system_sgpr_workgroup_id_y 0
		.amdhsa_system_sgpr_workgroup_id_z 0
		.amdhsa_system_sgpr_workgroup_info 0
		.amdhsa_system_vgpr_workitem_id 0
		.amdhsa_next_free_vgpr 48
		.amdhsa_next_free_sgpr 44
		.amdhsa_named_barrier_count 0
		.amdhsa_reserve_vcc 1
		.amdhsa_float_round_mode_32 0
		.amdhsa_float_round_mode_16_64 0
		.amdhsa_float_denorm_mode_32 3
		.amdhsa_float_denorm_mode_16_64 3
		.amdhsa_fp16_overflow 0
		.amdhsa_memory_ordered 1
		.amdhsa_forward_progress 1
		.amdhsa_inst_pref_size 39
		.amdhsa_round_robin_scheduling 0
		.amdhsa_exception_fp_ieee_invalid_op 0
		.amdhsa_exception_fp_denorm_src 0
		.amdhsa_exception_fp_ieee_div_zero 0
		.amdhsa_exception_fp_ieee_overflow 0
		.amdhsa_exception_fp_ieee_underflow 0
		.amdhsa_exception_fp_ieee_inexact 0
		.amdhsa_exception_int_div_zero 0
	.end_amdhsa_kernel
	.section	.text._ZN9rocsparseL15bsrilu0_generalILj128ELj64ELb0E21rocsparse_complex_numIdEEEv20rocsparse_direction_iPKiS5_PT2_S5_iPiS5_S8_21rocsparse_index_base_imNS_24const_host_device_scalarIfEENSA_IdEENSA_IS6_EEb,"axG",@progbits,_ZN9rocsparseL15bsrilu0_generalILj128ELj64ELb0E21rocsparse_complex_numIdEEEv20rocsparse_direction_iPKiS5_PT2_S5_iPiS5_S8_21rocsparse_index_base_imNS_24const_host_device_scalarIfEENSA_IdEENSA_IS6_EEb,comdat
.Lfunc_end26:
	.size	_ZN9rocsparseL15bsrilu0_generalILj128ELj64ELb0E21rocsparse_complex_numIdEEEv20rocsparse_direction_iPKiS5_PT2_S5_iPiS5_S8_21rocsparse_index_base_imNS_24const_host_device_scalarIfEENSA_IdEENSA_IS6_EEb, .Lfunc_end26-_ZN9rocsparseL15bsrilu0_generalILj128ELj64ELb0E21rocsparse_complex_numIdEEEv20rocsparse_direction_iPKiS5_PT2_S5_iPiS5_S8_21rocsparse_index_base_imNS_24const_host_device_scalarIfEENSA_IdEENSA_IS6_EEb
                                        ; -- End function
	.set _ZN9rocsparseL15bsrilu0_generalILj128ELj64ELb0E21rocsparse_complex_numIdEEEv20rocsparse_direction_iPKiS5_PT2_S5_iPiS5_S8_21rocsparse_index_base_imNS_24const_host_device_scalarIfEENSA_IdEENSA_IS6_EEb.num_vgpr, 48
	.set _ZN9rocsparseL15bsrilu0_generalILj128ELj64ELb0E21rocsparse_complex_numIdEEEv20rocsparse_direction_iPKiS5_PT2_S5_iPiS5_S8_21rocsparse_index_base_imNS_24const_host_device_scalarIfEENSA_IdEENSA_IS6_EEb.num_agpr, 0
	.set _ZN9rocsparseL15bsrilu0_generalILj128ELj64ELb0E21rocsparse_complex_numIdEEEv20rocsparse_direction_iPKiS5_PT2_S5_iPiS5_S8_21rocsparse_index_base_imNS_24const_host_device_scalarIfEENSA_IdEENSA_IS6_EEb.numbered_sgpr, 44
	.set _ZN9rocsparseL15bsrilu0_generalILj128ELj64ELb0E21rocsparse_complex_numIdEEEv20rocsparse_direction_iPKiS5_PT2_S5_iPiS5_S8_21rocsparse_index_base_imNS_24const_host_device_scalarIfEENSA_IdEENSA_IS6_EEb.num_named_barrier, 0
	.set _ZN9rocsparseL15bsrilu0_generalILj128ELj64ELb0E21rocsparse_complex_numIdEEEv20rocsparse_direction_iPKiS5_PT2_S5_iPiS5_S8_21rocsparse_index_base_imNS_24const_host_device_scalarIfEENSA_IdEENSA_IS6_EEb.private_seg_size, 48
	.set _ZN9rocsparseL15bsrilu0_generalILj128ELj64ELb0E21rocsparse_complex_numIdEEEv20rocsparse_direction_iPKiS5_PT2_S5_iPiS5_S8_21rocsparse_index_base_imNS_24const_host_device_scalarIfEENSA_IdEENSA_IS6_EEb.uses_vcc, 1
	.set _ZN9rocsparseL15bsrilu0_generalILj128ELj64ELb0E21rocsparse_complex_numIdEEEv20rocsparse_direction_iPKiS5_PT2_S5_iPiS5_S8_21rocsparse_index_base_imNS_24const_host_device_scalarIfEENSA_IdEENSA_IS6_EEb.uses_flat_scratch, 0
	.set _ZN9rocsparseL15bsrilu0_generalILj128ELj64ELb0E21rocsparse_complex_numIdEEEv20rocsparse_direction_iPKiS5_PT2_S5_iPiS5_S8_21rocsparse_index_base_imNS_24const_host_device_scalarIfEENSA_IdEENSA_IS6_EEb.has_dyn_sized_stack, 0
	.set _ZN9rocsparseL15bsrilu0_generalILj128ELj64ELb0E21rocsparse_complex_numIdEEEv20rocsparse_direction_iPKiS5_PT2_S5_iPiS5_S8_21rocsparse_index_base_imNS_24const_host_device_scalarIfEENSA_IdEENSA_IS6_EEb.has_recursion, 0
	.set _ZN9rocsparseL15bsrilu0_generalILj128ELj64ELb0E21rocsparse_complex_numIdEEEv20rocsparse_direction_iPKiS5_PT2_S5_iPiS5_S8_21rocsparse_index_base_imNS_24const_host_device_scalarIfEENSA_IdEENSA_IS6_EEb.has_indirect_call, 0
	.section	.AMDGPU.csdata,"",@progbits
; Kernel info:
; codeLenInByte = 4916
; TotalNumSgprs: 46
; NumVgprs: 48
; ScratchSize: 48
; MemoryBound: 0
; FloatMode: 240
; IeeeMode: 1
; LDSByteSize: 0 bytes/workgroup (compile time only)
; SGPRBlocks: 0
; VGPRBlocks: 2
; NumSGPRsForWavesPerEU: 46
; NumVGPRsForWavesPerEU: 48
; NamedBarCnt: 0
; Occupancy: 16
; WaveLimiterHint : 1
; COMPUTE_PGM_RSRC2:SCRATCH_EN: 1
; COMPUTE_PGM_RSRC2:USER_SGPR: 2
; COMPUTE_PGM_RSRC2:TRAP_HANDLER: 0
; COMPUTE_PGM_RSRC2:TGID_X_EN: 1
; COMPUTE_PGM_RSRC2:TGID_Y_EN: 0
; COMPUTE_PGM_RSRC2:TGID_Z_EN: 0
; COMPUTE_PGM_RSRC2:TIDIG_COMP_CNT: 0
	.section	.AMDGPU.gpr_maximums,"",@progbits
	.set amdgpu.max_num_vgpr, 0
	.set amdgpu.max_num_agpr, 0
	.set amdgpu.max_num_sgpr, 0
	.section	.AMDGPU.csdata,"",@progbits
	.type	__hip_cuid_b61407784a35e077,@object ; @__hip_cuid_b61407784a35e077
	.section	.bss,"aw",@nobits
	.globl	__hip_cuid_b61407784a35e077
__hip_cuid_b61407784a35e077:
	.byte	0                               ; 0x0
	.size	__hip_cuid_b61407784a35e077, 1

	.ident	"AMD clang version 22.0.0git (https://github.com/RadeonOpenCompute/llvm-project roc-7.2.4 26084 f58b06dce1f9c15707c5f808fd002e18c2accf7e)"
	.section	".note.GNU-stack","",@progbits
	.addrsig
	.addrsig_sym __hip_cuid_b61407784a35e077
	.amdgpu_metadata
---
amdhsa.kernels:
  - .args:
      - .offset:         0
        .size:           4
        .value_kind:     by_value
      - .offset:         4
        .size:           4
        .value_kind:     by_value
      - .address_space:  global
        .offset:         8
        .size:           8
        .value_kind:     global_buffer
      - .address_space:  global
        .offset:         16
        .size:           8
        .value_kind:     global_buffer
      - .address_space:  global
        .offset:         24
        .size:           8
        .value_kind:     global_buffer
      - .address_space:  global
        .offset:         32
        .size:           8
        .value_kind:     global_buffer
      - .offset:         40
        .size:           4
        .value_kind:     by_value
      - .address_space:  global
        .offset:         48
        .size:           8
        .value_kind:     global_buffer
      - .address_space:  global
        .offset:         56
        .size:           8
        .value_kind:     global_buffer
      - .address_space:  global
        .offset:         64
        .size:           8
        .value_kind:     global_buffer
      - .offset:         72
        .size:           4
        .value_kind:     by_value
      - .offset:         76
        .size:           4
        .value_kind:     by_value
      - .offset:         80
        .size:           8
        .value_kind:     by_value
      - .offset:         88
        .size:           8
        .value_kind:     by_value
      - .offset:         96
        .size:           8
        .value_kind:     by_value
      - .offset:         104
        .size:           8
        .value_kind:     by_value
      - .offset:         112
        .size:           1
        .value_kind:     by_value
    .group_segment_fixed_size: 0
    .kernarg_segment_align: 8
    .kernarg_segment_size: 116
    .language:       OpenCL C
    .language_version:
      - 2
      - 0
    .max_flat_workgroup_size: 128
    .name:           _ZN9rocsparseL15bsrilu0_generalILj128ELj64ELb1EfEEv20rocsparse_direction_iPKiS3_PT2_S3_iPiS3_S6_21rocsparse_index_base_imNS_24const_host_device_scalarIfEENS8_IdEENS8_IS4_EEb
    .private_segment_fixed_size: 0
    .sgpr_count:     48
    .sgpr_spill_count: 0
    .symbol:         _ZN9rocsparseL15bsrilu0_generalILj128ELj64ELb1EfEEv20rocsparse_direction_iPKiS3_PT2_S3_iPiS3_S6_21rocsparse_index_base_imNS_24const_host_device_scalarIfEENS8_IdEENS8_IS4_EEb.kd
    .uniform_work_group_size: 1
    .uses_dynamic_stack: false
    .vgpr_count:     33
    .vgpr_spill_count: 0
    .wavefront_size: 32
  - .args:
      - .offset:         0
        .size:           4
        .value_kind:     by_value
      - .offset:         4
        .size:           4
        .value_kind:     by_value
      - .address_space:  global
        .offset:         8
        .size:           8
        .value_kind:     global_buffer
      - .address_space:  global
        .offset:         16
        .size:           8
        .value_kind:     global_buffer
      - .address_space:  global
        .offset:         24
        .size:           8
        .value_kind:     global_buffer
      - .address_space:  global
        .offset:         32
        .size:           8
        .value_kind:     global_buffer
      - .offset:         40
        .size:           4
        .value_kind:     by_value
      - .address_space:  global
        .offset:         48
        .size:           8
        .value_kind:     global_buffer
      - .address_space:  global
        .offset:         56
        .size:           8
        .value_kind:     global_buffer
      - .address_space:  global
        .offset:         64
        .size:           8
        .value_kind:     global_buffer
      - .offset:         72
        .size:           4
        .value_kind:     by_value
      - .offset:         76
        .size:           4
        .value_kind:     by_value
      - .offset:         80
        .size:           8
        .value_kind:     by_value
      - .offset:         88
        .size:           8
        .value_kind:     by_value
      - .offset:         96
        .size:           8
        .value_kind:     by_value
      - .offset:         104
        .size:           8
        .value_kind:     by_value
      - .offset:         112
        .size:           1
        .value_kind:     by_value
    .group_segment_fixed_size: 0
    .kernarg_segment_align: 8
    .kernarg_segment_size: 116
    .language:       OpenCL C
    .language_version:
      - 2
      - 0
    .max_flat_workgroup_size: 128
    .name:           _ZN9rocsparseL15bsrilu0_generalILj128ELj32ELb0EfEEv20rocsparse_direction_iPKiS3_PT2_S3_iPiS3_S6_21rocsparse_index_base_imNS_24const_host_device_scalarIfEENS8_IdEENS8_IS4_EEb
    .private_segment_fixed_size: 0
    .sgpr_count:     48
    .sgpr_spill_count: 0
    .symbol:         _ZN9rocsparseL15bsrilu0_generalILj128ELj32ELb0EfEEv20rocsparse_direction_iPKiS3_PT2_S3_iPiS3_S6_21rocsparse_index_base_imNS_24const_host_device_scalarIfEENS8_IdEENS8_IS4_EEb.kd
    .uniform_work_group_size: 1
    .uses_dynamic_stack: false
    .vgpr_count:     33
    .vgpr_spill_count: 0
    .wavefront_size: 32
  - .args:
      - .offset:         0
        .size:           4
        .value_kind:     by_value
      - .offset:         4
        .size:           4
        .value_kind:     by_value
      - .address_space:  global
        .offset:         8
        .size:           8
        .value_kind:     global_buffer
      - .address_space:  global
        .offset:         16
        .size:           8
        .value_kind:     global_buffer
      - .address_space:  global
        .offset:         24
        .size:           8
        .value_kind:     global_buffer
      - .address_space:  global
        .offset:         32
        .size:           8
        .value_kind:     global_buffer
      - .offset:         40
        .size:           4
        .value_kind:     by_value
      - .address_space:  global
        .offset:         48
        .size:           8
        .value_kind:     global_buffer
      - .address_space:  global
        .offset:         56
        .size:           8
        .value_kind:     global_buffer
      - .address_space:  global
        .offset:         64
        .size:           8
        .value_kind:     global_buffer
      - .offset:         72
        .size:           4
        .value_kind:     by_value
      - .offset:         76
        .size:           4
        .value_kind:     by_value
      - .offset:         80
        .size:           8
        .value_kind:     by_value
      - .offset:         88
        .size:           8
        .value_kind:     by_value
      - .offset:         96
        .size:           8
        .value_kind:     by_value
      - .offset:         104
        .size:           8
        .value_kind:     by_value
      - .offset:         112
        .size:           1
        .value_kind:     by_value
      - .offset:         120
        .size:           4
        .value_kind:     hidden_block_count_x
      - .offset:         124
        .size:           4
        .value_kind:     hidden_block_count_y
      - .offset:         128
        .size:           4
        .value_kind:     hidden_block_count_z
      - .offset:         132
        .size:           2
        .value_kind:     hidden_group_size_x
      - .offset:         134
        .size:           2
        .value_kind:     hidden_group_size_y
      - .offset:         136
        .size:           2
        .value_kind:     hidden_group_size_z
      - .offset:         138
        .size:           2
        .value_kind:     hidden_remainder_x
      - .offset:         140
        .size:           2
        .value_kind:     hidden_remainder_y
      - .offset:         142
        .size:           2
        .value_kind:     hidden_remainder_z
      - .offset:         160
        .size:           8
        .value_kind:     hidden_global_offset_x
      - .offset:         168
        .size:           8
        .value_kind:     hidden_global_offset_y
      - .offset:         176
        .size:           8
        .value_kind:     hidden_global_offset_z
      - .offset:         184
        .size:           2
        .value_kind:     hidden_grid_dims
    .group_segment_fixed_size: 576
    .kernarg_segment_align: 8
    .kernarg_segment_size: 376
    .language:       OpenCL C
    .language_version:
      - 2
      - 0
    .max_flat_workgroup_size: 64
    .name:           _ZN9rocsparseL11bsrilu0_2_8ILj64ELj64ELj8EfEEv20rocsparse_direction_iPKiS3_PT2_S3_iPiS3_S6_21rocsparse_index_base_imNS_24const_host_device_scalarIfEENS8_IdEENS8_IS4_EEb
    .private_segment_fixed_size: 0
    .sgpr_count:     46
    .sgpr_spill_count: 0
    .symbol:         _ZN9rocsparseL11bsrilu0_2_8ILj64ELj64ELj8EfEEv20rocsparse_direction_iPKiS3_PT2_S3_iPiS3_S6_21rocsparse_index_base_imNS_24const_host_device_scalarIfEENS8_IdEENS8_IS4_EEb.kd
    .uniform_work_group_size: 1
    .uses_dynamic_stack: false
    .vgpr_count:     28
    .vgpr_spill_count: 0
    .wavefront_size: 32
  - .args:
      - .offset:         0
        .size:           4
        .value_kind:     by_value
      - .offset:         4
        .size:           4
        .value_kind:     by_value
      - .address_space:  global
        .offset:         8
        .size:           8
        .value_kind:     global_buffer
      - .address_space:  global
        .offset:         16
        .size:           8
        .value_kind:     global_buffer
      - .address_space:  global
        .offset:         24
        .size:           8
        .value_kind:     global_buffer
      - .address_space:  global
        .offset:         32
        .size:           8
        .value_kind:     global_buffer
      - .offset:         40
        .size:           4
        .value_kind:     by_value
      - .address_space:  global
        .offset:         48
        .size:           8
        .value_kind:     global_buffer
      - .address_space:  global
        .offset:         56
        .size:           8
        .value_kind:     global_buffer
      - .address_space:  global
        .offset:         64
        .size:           8
        .value_kind:     global_buffer
      - .offset:         72
        .size:           4
        .value_kind:     by_value
      - .offset:         76
        .size:           4
        .value_kind:     by_value
      - .offset:         80
        .size:           8
        .value_kind:     by_value
      - .offset:         88
        .size:           8
        .value_kind:     by_value
      - .offset:         96
        .size:           8
        .value_kind:     by_value
      - .offset:         104
        .size:           8
        .value_kind:     by_value
      - .offset:         112
        .size:           1
        .value_kind:     by_value
    .group_segment_fixed_size: 2176
    .kernarg_segment_align: 8
    .kernarg_segment_size: 116
    .language:       OpenCL C
    .language_version:
      - 2
      - 0
    .max_flat_workgroup_size: 64
    .name:           _ZN9rocsparseL12bsrilu0_9_32ILj64ELj64ELj16EfEEv20rocsparse_direction_iPKiS3_PT2_S3_iPiS3_S6_21rocsparse_index_base_imNS_24const_host_device_scalarIfEENS8_IdEENS8_IS4_EEb
    .private_segment_fixed_size: 0
    .sgpr_count:     61
    .sgpr_spill_count: 0
    .symbol:         _ZN9rocsparseL12bsrilu0_9_32ILj64ELj64ELj16EfEEv20rocsparse_direction_iPKiS3_PT2_S3_iPiS3_S6_21rocsparse_index_base_imNS_24const_host_device_scalarIfEENS8_IdEENS8_IS4_EEb.kd
    .uniform_work_group_size: 1
    .uses_dynamic_stack: false
    .vgpr_count:     52
    .vgpr_spill_count: 0
    .wavefront_size: 32
  - .args:
      - .offset:         0
        .size:           4
        .value_kind:     by_value
      - .offset:         4
        .size:           4
        .value_kind:     by_value
      - .address_space:  global
        .offset:         8
        .size:           8
        .value_kind:     global_buffer
      - .address_space:  global
        .offset:         16
        .size:           8
        .value_kind:     global_buffer
      - .address_space:  global
        .offset:         24
        .size:           8
        .value_kind:     global_buffer
      - .address_space:  global
        .offset:         32
        .size:           8
        .value_kind:     global_buffer
      - .offset:         40
        .size:           4
        .value_kind:     by_value
      - .address_space:  global
        .offset:         48
        .size:           8
        .value_kind:     global_buffer
      - .address_space:  global
        .offset:         56
        .size:           8
        .value_kind:     global_buffer
      - .address_space:  global
        .offset:         64
        .size:           8
        .value_kind:     global_buffer
      - .offset:         72
        .size:           4
        .value_kind:     by_value
      - .offset:         76
        .size:           4
        .value_kind:     by_value
      - .offset:         80
        .size:           8
        .value_kind:     by_value
      - .offset:         88
        .size:           8
        .value_kind:     by_value
      - .offset:         96
        .size:           8
        .value_kind:     by_value
      - .offset:         104
        .size:           8
        .value_kind:     by_value
      - .offset:         112
        .size:           1
        .value_kind:     by_value
    .group_segment_fixed_size: 8448
    .kernarg_segment_align: 8
    .kernarg_segment_size: 116
    .language:       OpenCL C
    .language_version:
      - 2
      - 0
    .max_flat_workgroup_size: 64
    .name:           _ZN9rocsparseL12bsrilu0_9_32ILj64ELj64ELj32EfEEv20rocsparse_direction_iPKiS3_PT2_S3_iPiS3_S6_21rocsparse_index_base_imNS_24const_host_device_scalarIfEENS8_IdEENS8_IS4_EEb
    .private_segment_fixed_size: 0
    .sgpr_count:     61
    .sgpr_spill_count: 0
    .symbol:         _ZN9rocsparseL12bsrilu0_9_32ILj64ELj64ELj32EfEEv20rocsparse_direction_iPKiS3_PT2_S3_iPiS3_S6_21rocsparse_index_base_imNS_24const_host_device_scalarIfEENS8_IdEENS8_IS4_EEb.kd
    .uniform_work_group_size: 1
    .uses_dynamic_stack: false
    .vgpr_count:     52
    .vgpr_spill_count: 0
    .wavefront_size: 32
  - .args:
      - .offset:         0
        .size:           4
        .value_kind:     by_value
      - .offset:         4
        .size:           4
        .value_kind:     by_value
      - .address_space:  global
        .offset:         8
        .size:           8
        .value_kind:     global_buffer
      - .address_space:  global
        .offset:         16
        .size:           8
        .value_kind:     global_buffer
      - .address_space:  global
        .offset:         24
        .size:           8
        .value_kind:     global_buffer
      - .address_space:  global
        .offset:         32
        .size:           8
        .value_kind:     global_buffer
      - .offset:         40
        .size:           4
        .value_kind:     by_value
      - .address_space:  global
        .offset:         48
        .size:           8
        .value_kind:     global_buffer
      - .address_space:  global
        .offset:         56
        .size:           8
        .value_kind:     global_buffer
      - .address_space:  global
        .offset:         64
        .size:           8
        .value_kind:     global_buffer
      - .offset:         72
        .size:           4
        .value_kind:     by_value
      - .offset:         76
        .size:           4
        .value_kind:     by_value
      - .offset:         80
        .size:           8
        .value_kind:     by_value
      - .offset:         88
        .size:           8
        .value_kind:     by_value
      - .offset:         96
        .size:           8
        .value_kind:     by_value
      - .offset:         104
        .size:           8
        .value_kind:     by_value
      - .offset:         112
        .size:           1
        .value_kind:     by_value
    .group_segment_fixed_size: 16640
    .kernarg_segment_align: 8
    .kernarg_segment_size: 116
    .language:       OpenCL C
    .language_version:
      - 2
      - 0
    .max_flat_workgroup_size: 64
    .name:           _ZN9rocsparseL13bsrilu0_33_64ILj64ELj64ELj64EfEEv20rocsparse_direction_iPKiS3_PT2_S3_iPiS3_S6_21rocsparse_index_base_imNS_24const_host_device_scalarIfEENS8_IdEENS8_IS4_EEb
    .private_segment_fixed_size: 0
    .sgpr_count:     56
    .sgpr_spill_count: 0
    .symbol:         _ZN9rocsparseL13bsrilu0_33_64ILj64ELj64ELj64EfEEv20rocsparse_direction_iPKiS3_PT2_S3_iPiS3_S6_21rocsparse_index_base_imNS_24const_host_device_scalarIfEENS8_IdEENS8_IS4_EEb.kd
    .uniform_work_group_size: 1
    .uses_dynamic_stack: false
    .vgpr_count:     36
    .vgpr_spill_count: 0
    .wavefront_size: 32
  - .args:
      - .offset:         0
        .size:           4
        .value_kind:     by_value
      - .offset:         4
        .size:           4
        .value_kind:     by_value
      - .address_space:  global
        .offset:         8
        .size:           8
        .value_kind:     global_buffer
      - .address_space:  global
        .offset:         16
        .size:           8
        .value_kind:     global_buffer
      - .address_space:  global
        .offset:         24
        .size:           8
        .value_kind:     global_buffer
      - .address_space:  global
        .offset:         32
        .size:           8
        .value_kind:     global_buffer
      - .offset:         40
        .size:           4
        .value_kind:     by_value
      - .address_space:  global
        .offset:         48
        .size:           8
        .value_kind:     global_buffer
      - .address_space:  global
        .offset:         56
        .size:           8
        .value_kind:     global_buffer
      - .address_space:  global
        .offset:         64
        .size:           8
        .value_kind:     global_buffer
      - .offset:         72
        .size:           4
        .value_kind:     by_value
      - .offset:         76
        .size:           4
        .value_kind:     by_value
      - .offset:         80
        .size:           8
        .value_kind:     by_value
      - .offset:         88
        .size:           8
        .value_kind:     by_value
      - .offset:         96
        .size:           8
        .value_kind:     by_value
      - .offset:         104
        .size:           8
        .value_kind:     by_value
      - .offset:         112
        .size:           1
        .value_kind:     by_value
    .group_segment_fixed_size: 0
    .kernarg_segment_align: 8
    .kernarg_segment_size: 116
    .language:       OpenCL C
    .language_version:
      - 2
      - 0
    .max_flat_workgroup_size: 128
    .name:           _ZN9rocsparseL15bsrilu0_generalILj128ELj64ELb0EfEEv20rocsparse_direction_iPKiS3_PT2_S3_iPiS3_S6_21rocsparse_index_base_imNS_24const_host_device_scalarIfEENS8_IdEENS8_IS4_EEb
    .private_segment_fixed_size: 0
    .sgpr_count:     48
    .sgpr_spill_count: 0
    .symbol:         _ZN9rocsparseL15bsrilu0_generalILj128ELj64ELb0EfEEv20rocsparse_direction_iPKiS3_PT2_S3_iPiS3_S6_21rocsparse_index_base_imNS_24const_host_device_scalarIfEENS8_IdEENS8_IS4_EEb.kd
    .uniform_work_group_size: 1
    .uses_dynamic_stack: false
    .vgpr_count:     33
    .vgpr_spill_count: 0
    .wavefront_size: 32
  - .args:
      - .offset:         0
        .size:           4
        .value_kind:     by_value
      - .offset:         4
        .size:           4
        .value_kind:     by_value
      - .address_space:  global
        .offset:         8
        .size:           8
        .value_kind:     global_buffer
      - .address_space:  global
        .offset:         16
        .size:           8
        .value_kind:     global_buffer
      - .address_space:  global
        .offset:         24
        .size:           8
        .value_kind:     global_buffer
      - .address_space:  global
        .offset:         32
        .size:           8
        .value_kind:     global_buffer
      - .offset:         40
        .size:           4
        .value_kind:     by_value
      - .address_space:  global
        .offset:         48
        .size:           8
        .value_kind:     global_buffer
      - .address_space:  global
        .offset:         56
        .size:           8
        .value_kind:     global_buffer
      - .address_space:  global
        .offset:         64
        .size:           8
        .value_kind:     global_buffer
      - .offset:         72
        .size:           4
        .value_kind:     by_value
      - .offset:         76
        .size:           4
        .value_kind:     by_value
      - .offset:         80
        .size:           8
        .value_kind:     by_value
      - .offset:         88
        .size:           8
        .value_kind:     by_value
      - .offset:         96
        .size:           8
        .value_kind:     by_value
      - .offset:         104
        .size:           8
        .value_kind:     by_value
      - .offset:         112
        .size:           1
        .value_kind:     by_value
    .group_segment_fixed_size: 0
    .kernarg_segment_align: 8
    .kernarg_segment_size: 116
    .language:       OpenCL C
    .language_version:
      - 2
      - 0
    .max_flat_workgroup_size: 128
    .name:           _ZN9rocsparseL15bsrilu0_generalILj128ELj64ELb1EdEEv20rocsparse_direction_iPKiS3_PT2_S3_iPiS3_S6_21rocsparse_index_base_imNS_24const_host_device_scalarIfEENS8_IdEENS8_IS4_EEb
    .private_segment_fixed_size: 0
    .sgpr_count:     47
    .sgpr_spill_count: 0
    .symbol:         _ZN9rocsparseL15bsrilu0_generalILj128ELj64ELb1EdEEv20rocsparse_direction_iPKiS3_PT2_S3_iPiS3_S6_21rocsparse_index_base_imNS_24const_host_device_scalarIfEENS8_IdEENS8_IS4_EEb.kd
    .uniform_work_group_size: 1
    .uses_dynamic_stack: false
    .vgpr_count:     40
    .vgpr_spill_count: 0
    .wavefront_size: 32
  - .args:
      - .offset:         0
        .size:           4
        .value_kind:     by_value
      - .offset:         4
        .size:           4
        .value_kind:     by_value
      - .address_space:  global
        .offset:         8
        .size:           8
        .value_kind:     global_buffer
      - .address_space:  global
        .offset:         16
        .size:           8
        .value_kind:     global_buffer
      - .address_space:  global
        .offset:         24
        .size:           8
        .value_kind:     global_buffer
      - .address_space:  global
        .offset:         32
        .size:           8
        .value_kind:     global_buffer
      - .offset:         40
        .size:           4
        .value_kind:     by_value
      - .address_space:  global
        .offset:         48
        .size:           8
        .value_kind:     global_buffer
      - .address_space:  global
        .offset:         56
        .size:           8
        .value_kind:     global_buffer
      - .address_space:  global
        .offset:         64
        .size:           8
        .value_kind:     global_buffer
      - .offset:         72
        .size:           4
        .value_kind:     by_value
      - .offset:         76
        .size:           4
        .value_kind:     by_value
      - .offset:         80
        .size:           8
        .value_kind:     by_value
      - .offset:         88
        .size:           8
        .value_kind:     by_value
      - .offset:         96
        .size:           8
        .value_kind:     by_value
      - .offset:         104
        .size:           8
        .value_kind:     by_value
      - .offset:         112
        .size:           1
        .value_kind:     by_value
    .group_segment_fixed_size: 0
    .kernarg_segment_align: 8
    .kernarg_segment_size: 116
    .language:       OpenCL C
    .language_version:
      - 2
      - 0
    .max_flat_workgroup_size: 128
    .name:           _ZN9rocsparseL15bsrilu0_generalILj128ELj32ELb0EdEEv20rocsparse_direction_iPKiS3_PT2_S3_iPiS3_S6_21rocsparse_index_base_imNS_24const_host_device_scalarIfEENS8_IdEENS8_IS4_EEb
    .private_segment_fixed_size: 0
    .sgpr_count:     47
    .sgpr_spill_count: 0
    .symbol:         _ZN9rocsparseL15bsrilu0_generalILj128ELj32ELb0EdEEv20rocsparse_direction_iPKiS3_PT2_S3_iPiS3_S6_21rocsparse_index_base_imNS_24const_host_device_scalarIfEENS8_IdEENS8_IS4_EEb.kd
    .uniform_work_group_size: 1
    .uses_dynamic_stack: false
    .vgpr_count:     40
    .vgpr_spill_count: 0
    .wavefront_size: 32
  - .args:
      - .offset:         0
        .size:           4
        .value_kind:     by_value
      - .offset:         4
        .size:           4
        .value_kind:     by_value
      - .address_space:  global
        .offset:         8
        .size:           8
        .value_kind:     global_buffer
      - .address_space:  global
        .offset:         16
        .size:           8
        .value_kind:     global_buffer
      - .address_space:  global
        .offset:         24
        .size:           8
        .value_kind:     global_buffer
      - .address_space:  global
        .offset:         32
        .size:           8
        .value_kind:     global_buffer
      - .offset:         40
        .size:           4
        .value_kind:     by_value
      - .address_space:  global
        .offset:         48
        .size:           8
        .value_kind:     global_buffer
      - .address_space:  global
        .offset:         56
        .size:           8
        .value_kind:     global_buffer
      - .address_space:  global
        .offset:         64
        .size:           8
        .value_kind:     global_buffer
      - .offset:         72
        .size:           4
        .value_kind:     by_value
      - .offset:         76
        .size:           4
        .value_kind:     by_value
      - .offset:         80
        .size:           8
        .value_kind:     by_value
      - .offset:         88
        .size:           8
        .value_kind:     by_value
      - .offset:         96
        .size:           8
        .value_kind:     by_value
      - .offset:         104
        .size:           8
        .value_kind:     by_value
      - .offset:         112
        .size:           1
        .value_kind:     by_value
      - .offset:         120
        .size:           4
        .value_kind:     hidden_block_count_x
      - .offset:         124
        .size:           4
        .value_kind:     hidden_block_count_y
      - .offset:         128
        .size:           4
        .value_kind:     hidden_block_count_z
      - .offset:         132
        .size:           2
        .value_kind:     hidden_group_size_x
      - .offset:         134
        .size:           2
        .value_kind:     hidden_group_size_y
      - .offset:         136
        .size:           2
        .value_kind:     hidden_group_size_z
      - .offset:         138
        .size:           2
        .value_kind:     hidden_remainder_x
      - .offset:         140
        .size:           2
        .value_kind:     hidden_remainder_y
      - .offset:         142
        .size:           2
        .value_kind:     hidden_remainder_z
      - .offset:         160
        .size:           8
        .value_kind:     hidden_global_offset_x
      - .offset:         168
        .size:           8
        .value_kind:     hidden_global_offset_y
      - .offset:         176
        .size:           8
        .value_kind:     hidden_global_offset_z
      - .offset:         184
        .size:           2
        .value_kind:     hidden_grid_dims
    .group_segment_fixed_size: 1152
    .kernarg_segment_align: 8
    .kernarg_segment_size: 376
    .language:       OpenCL C
    .language_version:
      - 2
      - 0
    .max_flat_workgroup_size: 64
    .name:           _ZN9rocsparseL11bsrilu0_2_8ILj64ELj64ELj8EdEEv20rocsparse_direction_iPKiS3_PT2_S3_iPiS3_S6_21rocsparse_index_base_imNS_24const_host_device_scalarIfEENS8_IdEENS8_IS4_EEb
    .private_segment_fixed_size: 0
    .sgpr_count:     45
    .sgpr_spill_count: 0
    .symbol:         _ZN9rocsparseL11bsrilu0_2_8ILj64ELj64ELj8EdEEv20rocsparse_direction_iPKiS3_PT2_S3_iPiS3_S6_21rocsparse_index_base_imNS_24const_host_device_scalarIfEENS8_IdEENS8_IS4_EEb.kd
    .uniform_work_group_size: 1
    .uses_dynamic_stack: false
    .vgpr_count:     36
    .vgpr_spill_count: 0
    .wavefront_size: 32
  - .args:
      - .offset:         0
        .size:           4
        .value_kind:     by_value
      - .offset:         4
        .size:           4
        .value_kind:     by_value
      - .address_space:  global
        .offset:         8
        .size:           8
        .value_kind:     global_buffer
      - .address_space:  global
        .offset:         16
        .size:           8
        .value_kind:     global_buffer
      - .address_space:  global
        .offset:         24
        .size:           8
        .value_kind:     global_buffer
      - .address_space:  global
        .offset:         32
        .size:           8
        .value_kind:     global_buffer
      - .offset:         40
        .size:           4
        .value_kind:     by_value
      - .address_space:  global
        .offset:         48
        .size:           8
        .value_kind:     global_buffer
      - .address_space:  global
        .offset:         56
        .size:           8
        .value_kind:     global_buffer
      - .address_space:  global
        .offset:         64
        .size:           8
        .value_kind:     global_buffer
      - .offset:         72
        .size:           4
        .value_kind:     by_value
      - .offset:         76
        .size:           4
        .value_kind:     by_value
      - .offset:         80
        .size:           8
        .value_kind:     by_value
      - .offset:         88
        .size:           8
        .value_kind:     by_value
      - .offset:         96
        .size:           8
        .value_kind:     by_value
      - .offset:         104
        .size:           8
        .value_kind:     by_value
      - .offset:         112
        .size:           1
        .value_kind:     by_value
    .group_segment_fixed_size: 4352
    .kernarg_segment_align: 8
    .kernarg_segment_size: 116
    .language:       OpenCL C
    .language_version:
      - 2
      - 0
    .max_flat_workgroup_size: 64
    .name:           _ZN9rocsparseL12bsrilu0_9_32ILj64ELj64ELj16EdEEv20rocsparse_direction_iPKiS3_PT2_S3_iPiS3_S6_21rocsparse_index_base_imNS_24const_host_device_scalarIfEENS8_IdEENS8_IS4_EEb
    .private_segment_fixed_size: 0
    .sgpr_count:     49
    .sgpr_spill_count: 0
    .symbol:         _ZN9rocsparseL12bsrilu0_9_32ILj64ELj64ELj16EdEEv20rocsparse_direction_iPKiS3_PT2_S3_iPiS3_S6_21rocsparse_index_base_imNS_24const_host_device_scalarIfEENS8_IdEENS8_IS4_EEb.kd
    .uniform_work_group_size: 1
    .uses_dynamic_stack: false
    .vgpr_count:     38
    .vgpr_spill_count: 0
    .wavefront_size: 32
  - .args:
      - .offset:         0
        .size:           4
        .value_kind:     by_value
      - .offset:         4
        .size:           4
        .value_kind:     by_value
      - .address_space:  global
        .offset:         8
        .size:           8
        .value_kind:     global_buffer
      - .address_space:  global
        .offset:         16
        .size:           8
        .value_kind:     global_buffer
      - .address_space:  global
        .offset:         24
        .size:           8
        .value_kind:     global_buffer
      - .address_space:  global
        .offset:         32
        .size:           8
        .value_kind:     global_buffer
      - .offset:         40
        .size:           4
        .value_kind:     by_value
      - .address_space:  global
        .offset:         48
        .size:           8
        .value_kind:     global_buffer
      - .address_space:  global
        .offset:         56
        .size:           8
        .value_kind:     global_buffer
      - .address_space:  global
        .offset:         64
        .size:           8
        .value_kind:     global_buffer
      - .offset:         72
        .size:           4
        .value_kind:     by_value
      - .offset:         76
        .size:           4
        .value_kind:     by_value
      - .offset:         80
        .size:           8
        .value_kind:     by_value
      - .offset:         88
        .size:           8
        .value_kind:     by_value
      - .offset:         96
        .size:           8
        .value_kind:     by_value
      - .offset:         104
        .size:           8
        .value_kind:     by_value
      - .offset:         112
        .size:           1
        .value_kind:     by_value
    .group_segment_fixed_size: 16896
    .kernarg_segment_align: 8
    .kernarg_segment_size: 116
    .language:       OpenCL C
    .language_version:
      - 2
      - 0
    .max_flat_workgroup_size: 64
    .name:           _ZN9rocsparseL12bsrilu0_9_32ILj64ELj64ELj32EdEEv20rocsparse_direction_iPKiS3_PT2_S3_iPiS3_S6_21rocsparse_index_base_imNS_24const_host_device_scalarIfEENS8_IdEENS8_IS4_EEb
    .private_segment_fixed_size: 0
    .sgpr_count:     49
    .sgpr_spill_count: 0
    .symbol:         _ZN9rocsparseL12bsrilu0_9_32ILj64ELj64ELj32EdEEv20rocsparse_direction_iPKiS3_PT2_S3_iPiS3_S6_21rocsparse_index_base_imNS_24const_host_device_scalarIfEENS8_IdEENS8_IS4_EEb.kd
    .uniform_work_group_size: 1
    .uses_dynamic_stack: false
    .vgpr_count:     38
    .vgpr_spill_count: 0
    .wavefront_size: 32
  - .args:
      - .offset:         0
        .size:           4
        .value_kind:     by_value
      - .offset:         4
        .size:           4
        .value_kind:     by_value
      - .address_space:  global
        .offset:         8
        .size:           8
        .value_kind:     global_buffer
      - .address_space:  global
        .offset:         16
        .size:           8
        .value_kind:     global_buffer
      - .address_space:  global
        .offset:         24
        .size:           8
        .value_kind:     global_buffer
      - .address_space:  global
        .offset:         32
        .size:           8
        .value_kind:     global_buffer
      - .offset:         40
        .size:           4
        .value_kind:     by_value
      - .address_space:  global
        .offset:         48
        .size:           8
        .value_kind:     global_buffer
      - .address_space:  global
        .offset:         56
        .size:           8
        .value_kind:     global_buffer
      - .address_space:  global
        .offset:         64
        .size:           8
        .value_kind:     global_buffer
      - .offset:         72
        .size:           4
        .value_kind:     by_value
      - .offset:         76
        .size:           4
        .value_kind:     by_value
      - .offset:         80
        .size:           8
        .value_kind:     by_value
      - .offset:         88
        .size:           8
        .value_kind:     by_value
      - .offset:         96
        .size:           8
        .value_kind:     by_value
      - .offset:         104
        .size:           8
        .value_kind:     by_value
      - .offset:         112
        .size:           1
        .value_kind:     by_value
    .group_segment_fixed_size: 33280
    .kernarg_segment_align: 8
    .kernarg_segment_size: 116
    .language:       OpenCL C
    .language_version:
      - 2
      - 0
    .max_flat_workgroup_size: 64
    .name:           _ZN9rocsparseL13bsrilu0_33_64ILj64ELj64ELj64EdEEv20rocsparse_direction_iPKiS3_PT2_S3_iPiS3_S6_21rocsparse_index_base_imNS_24const_host_device_scalarIfEENS8_IdEENS8_IS4_EEb
    .private_segment_fixed_size: 0
    .sgpr_count:     50
    .sgpr_spill_count: 0
    .symbol:         _ZN9rocsparseL13bsrilu0_33_64ILj64ELj64ELj64EdEEv20rocsparse_direction_iPKiS3_PT2_S3_iPiS3_S6_21rocsparse_index_base_imNS_24const_host_device_scalarIfEENS8_IdEENS8_IS4_EEb.kd
    .uniform_work_group_size: 1
    .uses_dynamic_stack: false
    .vgpr_count:     35
    .vgpr_spill_count: 0
    .wavefront_size: 32
  - .args:
      - .offset:         0
        .size:           4
        .value_kind:     by_value
      - .offset:         4
        .size:           4
        .value_kind:     by_value
      - .address_space:  global
        .offset:         8
        .size:           8
        .value_kind:     global_buffer
      - .address_space:  global
        .offset:         16
        .size:           8
        .value_kind:     global_buffer
      - .address_space:  global
        .offset:         24
        .size:           8
        .value_kind:     global_buffer
      - .address_space:  global
        .offset:         32
        .size:           8
        .value_kind:     global_buffer
      - .offset:         40
        .size:           4
        .value_kind:     by_value
      - .address_space:  global
        .offset:         48
        .size:           8
        .value_kind:     global_buffer
      - .address_space:  global
        .offset:         56
        .size:           8
        .value_kind:     global_buffer
      - .address_space:  global
        .offset:         64
        .size:           8
        .value_kind:     global_buffer
      - .offset:         72
        .size:           4
        .value_kind:     by_value
      - .offset:         76
        .size:           4
        .value_kind:     by_value
      - .offset:         80
        .size:           8
        .value_kind:     by_value
      - .offset:         88
        .size:           8
        .value_kind:     by_value
      - .offset:         96
        .size:           8
        .value_kind:     by_value
      - .offset:         104
        .size:           8
        .value_kind:     by_value
      - .offset:         112
        .size:           1
        .value_kind:     by_value
    .group_segment_fixed_size: 0
    .kernarg_segment_align: 8
    .kernarg_segment_size: 116
    .language:       OpenCL C
    .language_version:
      - 2
      - 0
    .max_flat_workgroup_size: 128
    .name:           _ZN9rocsparseL15bsrilu0_generalILj128ELj64ELb0EdEEv20rocsparse_direction_iPKiS3_PT2_S3_iPiS3_S6_21rocsparse_index_base_imNS_24const_host_device_scalarIfEENS8_IdEENS8_IS4_EEb
    .private_segment_fixed_size: 0
    .sgpr_count:     47
    .sgpr_spill_count: 0
    .symbol:         _ZN9rocsparseL15bsrilu0_generalILj128ELj64ELb0EdEEv20rocsparse_direction_iPKiS3_PT2_S3_iPiS3_S6_21rocsparse_index_base_imNS_24const_host_device_scalarIfEENS8_IdEENS8_IS4_EEb.kd
    .uniform_work_group_size: 1
    .uses_dynamic_stack: false
    .vgpr_count:     40
    .vgpr_spill_count: 0
    .wavefront_size: 32
  - .args:
      - .offset:         0
        .size:           4
        .value_kind:     by_value
      - .offset:         4
        .size:           4
        .value_kind:     by_value
      - .address_space:  global
        .offset:         8
        .size:           8
        .value_kind:     global_buffer
      - .address_space:  global
        .offset:         16
        .size:           8
        .value_kind:     global_buffer
      - .address_space:  global
        .offset:         24
        .size:           8
        .value_kind:     global_buffer
      - .address_space:  global
        .offset:         32
        .size:           8
        .value_kind:     global_buffer
      - .offset:         40
        .size:           4
        .value_kind:     by_value
      - .address_space:  global
        .offset:         48
        .size:           8
        .value_kind:     global_buffer
      - .address_space:  global
        .offset:         56
        .size:           8
        .value_kind:     global_buffer
      - .address_space:  global
        .offset:         64
        .size:           8
        .value_kind:     global_buffer
      - .offset:         72
        .size:           4
        .value_kind:     by_value
      - .offset:         76
        .size:           4
        .value_kind:     by_value
      - .offset:         80
        .size:           8
        .value_kind:     by_value
      - .offset:         88
        .size:           8
        .value_kind:     by_value
      - .offset:         96
        .size:           8
        .value_kind:     by_value
      - .offset:         104
        .size:           8
        .value_kind:     by_value
      - .offset:         112
        .size:           1
        .value_kind:     by_value
    .group_segment_fixed_size: 0
    .kernarg_segment_align: 8
    .kernarg_segment_size: 116
    .language:       OpenCL C
    .language_version:
      - 2
      - 0
    .max_flat_workgroup_size: 128
    .name:           _ZN9rocsparseL15bsrilu0_generalILj128ELj64ELb1E21rocsparse_complex_numIfEEEv20rocsparse_direction_iPKiS5_PT2_S5_iPiS5_S8_21rocsparse_index_base_imNS_24const_host_device_scalarIfEENSA_IdEENSA_IS6_EEb
    .private_segment_fixed_size: 0
    .sgpr_count:     48
    .sgpr_spill_count: 0
    .symbol:         _ZN9rocsparseL15bsrilu0_generalILj128ELj64ELb1E21rocsparse_complex_numIfEEEv20rocsparse_direction_iPKiS5_PT2_S5_iPiS5_S8_21rocsparse_index_base_imNS_24const_host_device_scalarIfEENSA_IdEENSA_IS6_EEb.kd
    .uniform_work_group_size: 1
    .uses_dynamic_stack: false
    .vgpr_count:     44
    .vgpr_spill_count: 0
    .wavefront_size: 32
  - .args:
      - .offset:         0
        .size:           4
        .value_kind:     by_value
      - .offset:         4
        .size:           4
        .value_kind:     by_value
      - .address_space:  global
        .offset:         8
        .size:           8
        .value_kind:     global_buffer
      - .address_space:  global
        .offset:         16
        .size:           8
        .value_kind:     global_buffer
      - .address_space:  global
        .offset:         24
        .size:           8
        .value_kind:     global_buffer
      - .address_space:  global
        .offset:         32
        .size:           8
        .value_kind:     global_buffer
      - .offset:         40
        .size:           4
        .value_kind:     by_value
      - .address_space:  global
        .offset:         48
        .size:           8
        .value_kind:     global_buffer
      - .address_space:  global
        .offset:         56
        .size:           8
        .value_kind:     global_buffer
      - .address_space:  global
        .offset:         64
        .size:           8
        .value_kind:     global_buffer
      - .offset:         72
        .size:           4
        .value_kind:     by_value
      - .offset:         76
        .size:           4
        .value_kind:     by_value
      - .offset:         80
        .size:           8
        .value_kind:     by_value
      - .offset:         88
        .size:           8
        .value_kind:     by_value
      - .offset:         96
        .size:           8
        .value_kind:     by_value
      - .offset:         104
        .size:           8
        .value_kind:     by_value
      - .offset:         112
        .size:           1
        .value_kind:     by_value
    .group_segment_fixed_size: 0
    .kernarg_segment_align: 8
    .kernarg_segment_size: 116
    .language:       OpenCL C
    .language_version:
      - 2
      - 0
    .max_flat_workgroup_size: 128
    .name:           _ZN9rocsparseL15bsrilu0_generalILj128ELj32ELb0E21rocsparse_complex_numIfEEEv20rocsparse_direction_iPKiS5_PT2_S5_iPiS5_S8_21rocsparse_index_base_imNS_24const_host_device_scalarIfEENSA_IdEENSA_IS6_EEb
    .private_segment_fixed_size: 0
    .sgpr_count:     48
    .sgpr_spill_count: 0
    .symbol:         _ZN9rocsparseL15bsrilu0_generalILj128ELj32ELb0E21rocsparse_complex_numIfEEEv20rocsparse_direction_iPKiS5_PT2_S5_iPiS5_S8_21rocsparse_index_base_imNS_24const_host_device_scalarIfEENSA_IdEENSA_IS6_EEb.kd
    .uniform_work_group_size: 1
    .uses_dynamic_stack: false
    .vgpr_count:     44
    .vgpr_spill_count: 0
    .wavefront_size: 32
  - .args:
      - .offset:         0
        .size:           4
        .value_kind:     by_value
      - .offset:         4
        .size:           4
        .value_kind:     by_value
      - .address_space:  global
        .offset:         8
        .size:           8
        .value_kind:     global_buffer
      - .address_space:  global
        .offset:         16
        .size:           8
        .value_kind:     global_buffer
      - .address_space:  global
        .offset:         24
        .size:           8
        .value_kind:     global_buffer
      - .address_space:  global
        .offset:         32
        .size:           8
        .value_kind:     global_buffer
      - .offset:         40
        .size:           4
        .value_kind:     by_value
      - .address_space:  global
        .offset:         48
        .size:           8
        .value_kind:     global_buffer
      - .address_space:  global
        .offset:         56
        .size:           8
        .value_kind:     global_buffer
      - .address_space:  global
        .offset:         64
        .size:           8
        .value_kind:     global_buffer
      - .offset:         72
        .size:           4
        .value_kind:     by_value
      - .offset:         76
        .size:           4
        .value_kind:     by_value
      - .offset:         80
        .size:           8
        .value_kind:     by_value
      - .offset:         88
        .size:           8
        .value_kind:     by_value
      - .offset:         96
        .size:           8
        .value_kind:     by_value
      - .offset:         104
        .size:           8
        .value_kind:     by_value
      - .offset:         112
        .size:           1
        .value_kind:     by_value
      - .offset:         120
        .size:           4
        .value_kind:     hidden_block_count_x
      - .offset:         124
        .size:           4
        .value_kind:     hidden_block_count_y
      - .offset:         128
        .size:           4
        .value_kind:     hidden_block_count_z
      - .offset:         132
        .size:           2
        .value_kind:     hidden_group_size_x
      - .offset:         134
        .size:           2
        .value_kind:     hidden_group_size_y
      - .offset:         136
        .size:           2
        .value_kind:     hidden_group_size_z
      - .offset:         138
        .size:           2
        .value_kind:     hidden_remainder_x
      - .offset:         140
        .size:           2
        .value_kind:     hidden_remainder_y
      - .offset:         142
        .size:           2
        .value_kind:     hidden_remainder_z
      - .offset:         160
        .size:           8
        .value_kind:     hidden_global_offset_x
      - .offset:         168
        .size:           8
        .value_kind:     hidden_global_offset_y
      - .offset:         176
        .size:           8
        .value_kind:     hidden_global_offset_z
      - .offset:         184
        .size:           2
        .value_kind:     hidden_grid_dims
    .group_segment_fixed_size: 1152
    .kernarg_segment_align: 8
    .kernarg_segment_size: 376
    .language:       OpenCL C
    .language_version:
      - 2
      - 0
    .max_flat_workgroup_size: 64
    .name:           _ZN9rocsparseL11bsrilu0_2_8ILj64ELj64ELj8E21rocsparse_complex_numIfEEEv20rocsparse_direction_iPKiS5_PT2_S5_iPiS5_S8_21rocsparse_index_base_imNS_24const_host_device_scalarIfEENSA_IdEENSA_IS6_EEb
    .private_segment_fixed_size: 0
    .sgpr_count:     46
    .sgpr_spill_count: 0
    .symbol:         _ZN9rocsparseL11bsrilu0_2_8ILj64ELj64ELj8E21rocsparse_complex_numIfEEEv20rocsparse_direction_iPKiS5_PT2_S5_iPiS5_S8_21rocsparse_index_base_imNS_24const_host_device_scalarIfEENSA_IdEENSA_IS6_EEb.kd
    .uniform_work_group_size: 1
    .uses_dynamic_stack: false
    .vgpr_count:     32
    .vgpr_spill_count: 0
    .wavefront_size: 32
  - .args:
      - .offset:         0
        .size:           4
        .value_kind:     by_value
      - .offset:         4
        .size:           4
        .value_kind:     by_value
      - .address_space:  global
        .offset:         8
        .size:           8
        .value_kind:     global_buffer
      - .address_space:  global
        .offset:         16
        .size:           8
        .value_kind:     global_buffer
      - .address_space:  global
        .offset:         24
        .size:           8
        .value_kind:     global_buffer
      - .address_space:  global
        .offset:         32
        .size:           8
        .value_kind:     global_buffer
      - .offset:         40
        .size:           4
        .value_kind:     by_value
      - .address_space:  global
        .offset:         48
        .size:           8
        .value_kind:     global_buffer
      - .address_space:  global
        .offset:         56
        .size:           8
        .value_kind:     global_buffer
      - .address_space:  global
        .offset:         64
        .size:           8
        .value_kind:     global_buffer
      - .offset:         72
        .size:           4
        .value_kind:     by_value
      - .offset:         76
        .size:           4
        .value_kind:     by_value
      - .offset:         80
        .size:           8
        .value_kind:     by_value
      - .offset:         88
        .size:           8
        .value_kind:     by_value
      - .offset:         96
        .size:           8
        .value_kind:     by_value
      - .offset:         104
        .size:           8
        .value_kind:     by_value
      - .offset:         112
        .size:           1
        .value_kind:     by_value
    .group_segment_fixed_size: 4352
    .kernarg_segment_align: 8
    .kernarg_segment_size: 116
    .language:       OpenCL C
    .language_version:
      - 2
      - 0
    .max_flat_workgroup_size: 64
    .name:           _ZN9rocsparseL12bsrilu0_9_32ILj64ELj64ELj16E21rocsparse_complex_numIfEEEv20rocsparse_direction_iPKiS5_PT2_S5_iPiS5_S8_21rocsparse_index_base_imNS_24const_host_device_scalarIfEENSA_IdEENSA_IS6_EEb
    .private_segment_fixed_size: 0
    .sgpr_count:     56
    .sgpr_spill_count: 0
    .symbol:         _ZN9rocsparseL12bsrilu0_9_32ILj64ELj64ELj16E21rocsparse_complex_numIfEEEv20rocsparse_direction_iPKiS5_PT2_S5_iPiS5_S8_21rocsparse_index_base_imNS_24const_host_device_scalarIfEENSA_IdEENSA_IS6_EEb.kd
    .uniform_work_group_size: 1
    .uses_dynamic_stack: false
    .vgpr_count:     62
    .vgpr_spill_count: 0
    .wavefront_size: 32
  - .args:
      - .offset:         0
        .size:           4
        .value_kind:     by_value
      - .offset:         4
        .size:           4
        .value_kind:     by_value
      - .address_space:  global
        .offset:         8
        .size:           8
        .value_kind:     global_buffer
      - .address_space:  global
        .offset:         16
        .size:           8
        .value_kind:     global_buffer
      - .address_space:  global
        .offset:         24
        .size:           8
        .value_kind:     global_buffer
      - .address_space:  global
        .offset:         32
        .size:           8
        .value_kind:     global_buffer
      - .offset:         40
        .size:           4
        .value_kind:     by_value
      - .address_space:  global
        .offset:         48
        .size:           8
        .value_kind:     global_buffer
      - .address_space:  global
        .offset:         56
        .size:           8
        .value_kind:     global_buffer
      - .address_space:  global
        .offset:         64
        .size:           8
        .value_kind:     global_buffer
      - .offset:         72
        .size:           4
        .value_kind:     by_value
      - .offset:         76
        .size:           4
        .value_kind:     by_value
      - .offset:         80
        .size:           8
        .value_kind:     by_value
      - .offset:         88
        .size:           8
        .value_kind:     by_value
      - .offset:         96
        .size:           8
        .value_kind:     by_value
      - .offset:         104
        .size:           8
        .value_kind:     by_value
      - .offset:         112
        .size:           1
        .value_kind:     by_value
    .group_segment_fixed_size: 16896
    .kernarg_segment_align: 8
    .kernarg_segment_size: 116
    .language:       OpenCL C
    .language_version:
      - 2
      - 0
    .max_flat_workgroup_size: 64
    .name:           _ZN9rocsparseL12bsrilu0_9_32ILj64ELj64ELj32E21rocsparse_complex_numIfEEEv20rocsparse_direction_iPKiS5_PT2_S5_iPiS5_S8_21rocsparse_index_base_imNS_24const_host_device_scalarIfEENSA_IdEENSA_IS6_EEb
    .private_segment_fixed_size: 0
    .sgpr_count:     56
    .sgpr_spill_count: 0
    .symbol:         _ZN9rocsparseL12bsrilu0_9_32ILj64ELj64ELj32E21rocsparse_complex_numIfEEEv20rocsparse_direction_iPKiS5_PT2_S5_iPiS5_S8_21rocsparse_index_base_imNS_24const_host_device_scalarIfEENSA_IdEENSA_IS6_EEb.kd
    .uniform_work_group_size: 1
    .uses_dynamic_stack: false
    .vgpr_count:     62
    .vgpr_spill_count: 0
    .wavefront_size: 32
  - .args:
      - .offset:         0
        .size:           4
        .value_kind:     by_value
      - .offset:         4
        .size:           4
        .value_kind:     by_value
      - .address_space:  global
        .offset:         8
        .size:           8
        .value_kind:     global_buffer
      - .address_space:  global
        .offset:         16
        .size:           8
        .value_kind:     global_buffer
      - .address_space:  global
        .offset:         24
        .size:           8
        .value_kind:     global_buffer
      - .address_space:  global
        .offset:         32
        .size:           8
        .value_kind:     global_buffer
      - .offset:         40
        .size:           4
        .value_kind:     by_value
      - .address_space:  global
        .offset:         48
        .size:           8
        .value_kind:     global_buffer
      - .address_space:  global
        .offset:         56
        .size:           8
        .value_kind:     global_buffer
      - .address_space:  global
        .offset:         64
        .size:           8
        .value_kind:     global_buffer
      - .offset:         72
        .size:           4
        .value_kind:     by_value
      - .offset:         76
        .size:           4
        .value_kind:     by_value
      - .offset:         80
        .size:           8
        .value_kind:     by_value
      - .offset:         88
        .size:           8
        .value_kind:     by_value
      - .offset:         96
        .size:           8
        .value_kind:     by_value
      - .offset:         104
        .size:           8
        .value_kind:     by_value
      - .offset:         112
        .size:           1
        .value_kind:     by_value
    .group_segment_fixed_size: 33280
    .kernarg_segment_align: 8
    .kernarg_segment_size: 116
    .language:       OpenCL C
    .language_version:
      - 2
      - 0
    .max_flat_workgroup_size: 64
    .name:           _ZN9rocsparseL13bsrilu0_33_64ILj64ELj64ELj64E21rocsparse_complex_numIfEEEv20rocsparse_direction_iPKiS5_PT2_S5_iPiS5_S8_21rocsparse_index_base_imNS_24const_host_device_scalarIfEENSA_IdEENSA_IS6_EEb
    .private_segment_fixed_size: 0
    .sgpr_count:     51
    .sgpr_spill_count: 0
    .symbol:         _ZN9rocsparseL13bsrilu0_33_64ILj64ELj64ELj64E21rocsparse_complex_numIfEEEv20rocsparse_direction_iPKiS5_PT2_S5_iPiS5_S8_21rocsparse_index_base_imNS_24const_host_device_scalarIfEENSA_IdEENSA_IS6_EEb.kd
    .uniform_work_group_size: 1
    .uses_dynamic_stack: false
    .vgpr_count:     40
    .vgpr_spill_count: 0
    .wavefront_size: 32
  - .args:
      - .offset:         0
        .size:           4
        .value_kind:     by_value
      - .offset:         4
        .size:           4
        .value_kind:     by_value
      - .address_space:  global
        .offset:         8
        .size:           8
        .value_kind:     global_buffer
      - .address_space:  global
        .offset:         16
        .size:           8
        .value_kind:     global_buffer
      - .address_space:  global
        .offset:         24
        .size:           8
        .value_kind:     global_buffer
      - .address_space:  global
        .offset:         32
        .size:           8
        .value_kind:     global_buffer
      - .offset:         40
        .size:           4
        .value_kind:     by_value
      - .address_space:  global
        .offset:         48
        .size:           8
        .value_kind:     global_buffer
      - .address_space:  global
        .offset:         56
        .size:           8
        .value_kind:     global_buffer
      - .address_space:  global
        .offset:         64
        .size:           8
        .value_kind:     global_buffer
      - .offset:         72
        .size:           4
        .value_kind:     by_value
      - .offset:         76
        .size:           4
        .value_kind:     by_value
      - .offset:         80
        .size:           8
        .value_kind:     by_value
      - .offset:         88
        .size:           8
        .value_kind:     by_value
      - .offset:         96
        .size:           8
        .value_kind:     by_value
      - .offset:         104
        .size:           8
        .value_kind:     by_value
      - .offset:         112
        .size:           1
        .value_kind:     by_value
    .group_segment_fixed_size: 0
    .kernarg_segment_align: 8
    .kernarg_segment_size: 116
    .language:       OpenCL C
    .language_version:
      - 2
      - 0
    .max_flat_workgroup_size: 128
    .name:           _ZN9rocsparseL15bsrilu0_generalILj128ELj64ELb0E21rocsparse_complex_numIfEEEv20rocsparse_direction_iPKiS5_PT2_S5_iPiS5_S8_21rocsparse_index_base_imNS_24const_host_device_scalarIfEENSA_IdEENSA_IS6_EEb
    .private_segment_fixed_size: 0
    .sgpr_count:     48
    .sgpr_spill_count: 0
    .symbol:         _ZN9rocsparseL15bsrilu0_generalILj128ELj64ELb0E21rocsparse_complex_numIfEEEv20rocsparse_direction_iPKiS5_PT2_S5_iPiS5_S8_21rocsparse_index_base_imNS_24const_host_device_scalarIfEENSA_IdEENSA_IS6_EEb.kd
    .uniform_work_group_size: 1
    .uses_dynamic_stack: false
    .vgpr_count:     44
    .vgpr_spill_count: 0
    .wavefront_size: 32
  - .args:
      - .offset:         0
        .size:           4
        .value_kind:     by_value
      - .offset:         4
        .size:           4
        .value_kind:     by_value
      - .address_space:  global
        .offset:         8
        .size:           8
        .value_kind:     global_buffer
      - .address_space:  global
        .offset:         16
        .size:           8
        .value_kind:     global_buffer
      - .address_space:  global
        .offset:         24
        .size:           8
        .value_kind:     global_buffer
      - .address_space:  global
        .offset:         32
        .size:           8
        .value_kind:     global_buffer
      - .offset:         40
        .size:           4
        .value_kind:     by_value
      - .address_space:  global
        .offset:         48
        .size:           8
        .value_kind:     global_buffer
      - .address_space:  global
        .offset:         56
        .size:           8
        .value_kind:     global_buffer
      - .address_space:  global
        .offset:         64
        .size:           8
        .value_kind:     global_buffer
      - .offset:         72
        .size:           4
        .value_kind:     by_value
      - .offset:         76
        .size:           4
        .value_kind:     by_value
      - .offset:         80
        .size:           8
        .value_kind:     by_value
      - .offset:         88
        .size:           8
        .value_kind:     by_value
      - .offset:         96
        .size:           8
        .value_kind:     by_value
      - .offset:         104
        .size:           16
        .value_kind:     by_value
      - .offset:         120
        .size:           1
        .value_kind:     by_value
    .group_segment_fixed_size: 0
    .kernarg_segment_align: 8
    .kernarg_segment_size: 124
    .language:       OpenCL C
    .language_version:
      - 2
      - 0
    .max_flat_workgroup_size: 128
    .name:           _ZN9rocsparseL15bsrilu0_generalILj128ELj64ELb1E21rocsparse_complex_numIdEEEv20rocsparse_direction_iPKiS5_PT2_S5_iPiS5_S8_21rocsparse_index_base_imNS_24const_host_device_scalarIfEENSA_IdEENSA_IS6_EEb
    .private_segment_fixed_size: 48
    .sgpr_count:     46
    .sgpr_spill_count: 0
    .symbol:         _ZN9rocsparseL15bsrilu0_generalILj128ELj64ELb1E21rocsparse_complex_numIdEEEv20rocsparse_direction_iPKiS5_PT2_S5_iPiS5_S8_21rocsparse_index_base_imNS_24const_host_device_scalarIfEENSA_IdEENSA_IS6_EEb.kd
    .uniform_work_group_size: 1
    .uses_dynamic_stack: false
    .vgpr_count:     48
    .vgpr_spill_count: 0
    .wavefront_size: 32
  - .args:
      - .offset:         0
        .size:           4
        .value_kind:     by_value
      - .offset:         4
        .size:           4
        .value_kind:     by_value
      - .address_space:  global
        .offset:         8
        .size:           8
        .value_kind:     global_buffer
      - .address_space:  global
        .offset:         16
        .size:           8
        .value_kind:     global_buffer
      - .address_space:  global
        .offset:         24
        .size:           8
        .value_kind:     global_buffer
      - .address_space:  global
        .offset:         32
        .size:           8
        .value_kind:     global_buffer
      - .offset:         40
        .size:           4
        .value_kind:     by_value
      - .address_space:  global
        .offset:         48
        .size:           8
        .value_kind:     global_buffer
      - .address_space:  global
        .offset:         56
        .size:           8
        .value_kind:     global_buffer
      - .address_space:  global
        .offset:         64
        .size:           8
        .value_kind:     global_buffer
      - .offset:         72
        .size:           4
        .value_kind:     by_value
      - .offset:         76
        .size:           4
        .value_kind:     by_value
      - .offset:         80
        .size:           8
        .value_kind:     by_value
      - .offset:         88
        .size:           8
        .value_kind:     by_value
      - .offset:         96
        .size:           8
        .value_kind:     by_value
      - .offset:         104
        .size:           16
        .value_kind:     by_value
      - .offset:         120
        .size:           1
        .value_kind:     by_value
    .group_segment_fixed_size: 0
    .kernarg_segment_align: 8
    .kernarg_segment_size: 124
    .language:       OpenCL C
    .language_version:
      - 2
      - 0
    .max_flat_workgroup_size: 128
    .name:           _ZN9rocsparseL15bsrilu0_generalILj128ELj32ELb0E21rocsparse_complex_numIdEEEv20rocsparse_direction_iPKiS5_PT2_S5_iPiS5_S8_21rocsparse_index_base_imNS_24const_host_device_scalarIfEENSA_IdEENSA_IS6_EEb
    .private_segment_fixed_size: 48
    .sgpr_count:     46
    .sgpr_spill_count: 0
    .symbol:         _ZN9rocsparseL15bsrilu0_generalILj128ELj32ELb0E21rocsparse_complex_numIdEEEv20rocsparse_direction_iPKiS5_PT2_S5_iPiS5_S8_21rocsparse_index_base_imNS_24const_host_device_scalarIfEENSA_IdEENSA_IS6_EEb.kd
    .uniform_work_group_size: 1
    .uses_dynamic_stack: false
    .vgpr_count:     48
    .vgpr_spill_count: 0
    .wavefront_size: 32
  - .args:
      - .offset:         0
        .size:           4
        .value_kind:     by_value
      - .offset:         4
        .size:           4
        .value_kind:     by_value
      - .address_space:  global
        .offset:         8
        .size:           8
        .value_kind:     global_buffer
      - .address_space:  global
        .offset:         16
        .size:           8
        .value_kind:     global_buffer
      - .address_space:  global
        .offset:         24
        .size:           8
        .value_kind:     global_buffer
      - .address_space:  global
        .offset:         32
        .size:           8
        .value_kind:     global_buffer
      - .offset:         40
        .size:           4
        .value_kind:     by_value
      - .address_space:  global
        .offset:         48
        .size:           8
        .value_kind:     global_buffer
      - .address_space:  global
        .offset:         56
        .size:           8
        .value_kind:     global_buffer
      - .address_space:  global
        .offset:         64
        .size:           8
        .value_kind:     global_buffer
      - .offset:         72
        .size:           4
        .value_kind:     by_value
      - .offset:         76
        .size:           4
        .value_kind:     by_value
      - .offset:         80
        .size:           8
        .value_kind:     by_value
      - .offset:         88
        .size:           8
        .value_kind:     by_value
      - .offset:         96
        .size:           8
        .value_kind:     by_value
      - .offset:         104
        .size:           16
        .value_kind:     by_value
      - .offset:         120
        .size:           1
        .value_kind:     by_value
      - .offset:         128
        .size:           4
        .value_kind:     hidden_block_count_x
      - .offset:         132
        .size:           4
        .value_kind:     hidden_block_count_y
      - .offset:         136
        .size:           4
        .value_kind:     hidden_block_count_z
      - .offset:         140
        .size:           2
        .value_kind:     hidden_group_size_x
      - .offset:         142
        .size:           2
        .value_kind:     hidden_group_size_y
      - .offset:         144
        .size:           2
        .value_kind:     hidden_group_size_z
      - .offset:         146
        .size:           2
        .value_kind:     hidden_remainder_x
      - .offset:         148
        .size:           2
        .value_kind:     hidden_remainder_y
      - .offset:         150
        .size:           2
        .value_kind:     hidden_remainder_z
      - .offset:         168
        .size:           8
        .value_kind:     hidden_global_offset_x
      - .offset:         176
        .size:           8
        .value_kind:     hidden_global_offset_y
      - .offset:         184
        .size:           8
        .value_kind:     hidden_global_offset_z
      - .offset:         192
        .size:           2
        .value_kind:     hidden_grid_dims
    .group_segment_fixed_size: 2304
    .kernarg_segment_align: 8
    .kernarg_segment_size: 384
    .language:       OpenCL C
    .language_version:
      - 2
      - 0
    .max_flat_workgroup_size: 64
    .name:           _ZN9rocsparseL11bsrilu0_2_8ILj64ELj64ELj8E21rocsparse_complex_numIdEEEv20rocsparse_direction_iPKiS5_PT2_S5_iPiS5_S8_21rocsparse_index_base_imNS_24const_host_device_scalarIfEENSA_IdEENSA_IS6_EEb
    .private_segment_fixed_size: 48
    .sgpr_count:     41
    .sgpr_spill_count: 0
    .symbol:         _ZN9rocsparseL11bsrilu0_2_8ILj64ELj64ELj8E21rocsparse_complex_numIdEEEv20rocsparse_direction_iPKiS5_PT2_S5_iPiS5_S8_21rocsparse_index_base_imNS_24const_host_device_scalarIfEENSA_IdEENSA_IS6_EEb.kd
    .uniform_work_group_size: 1
    .uses_dynamic_stack: false
    .vgpr_count:     40
    .vgpr_spill_count: 0
    .wavefront_size: 32
  - .args:
      - .offset:         0
        .size:           4
        .value_kind:     by_value
      - .offset:         4
        .size:           4
        .value_kind:     by_value
      - .address_space:  global
        .offset:         8
        .size:           8
        .value_kind:     global_buffer
      - .address_space:  global
        .offset:         16
        .size:           8
        .value_kind:     global_buffer
      - .address_space:  global
        .offset:         24
        .size:           8
        .value_kind:     global_buffer
      - .address_space:  global
        .offset:         32
        .size:           8
        .value_kind:     global_buffer
      - .offset:         40
        .size:           4
        .value_kind:     by_value
      - .address_space:  global
        .offset:         48
        .size:           8
        .value_kind:     global_buffer
      - .address_space:  global
        .offset:         56
        .size:           8
        .value_kind:     global_buffer
      - .address_space:  global
        .offset:         64
        .size:           8
        .value_kind:     global_buffer
      - .offset:         72
        .size:           4
        .value_kind:     by_value
      - .offset:         76
        .size:           4
        .value_kind:     by_value
      - .offset:         80
        .size:           8
        .value_kind:     by_value
      - .offset:         88
        .size:           8
        .value_kind:     by_value
      - .offset:         96
        .size:           8
        .value_kind:     by_value
      - .offset:         104
        .size:           16
        .value_kind:     by_value
      - .offset:         120
        .size:           1
        .value_kind:     by_value
    .group_segment_fixed_size: 8704
    .kernarg_segment_align: 8
    .kernarg_segment_size: 124
    .language:       OpenCL C
    .language_version:
      - 2
      - 0
    .max_flat_workgroup_size: 64
    .name:           _ZN9rocsparseL12bsrilu0_9_32ILj64ELj64ELj16E21rocsparse_complex_numIdEEEv20rocsparse_direction_iPKiS5_PT2_S5_iPiS5_S8_21rocsparse_index_base_imNS_24const_host_device_scalarIfEENSA_IdEENSA_IS6_EEb
    .private_segment_fixed_size: 48
    .sgpr_count:     48
    .sgpr_spill_count: 0
    .symbol:         _ZN9rocsparseL12bsrilu0_9_32ILj64ELj64ELj16E21rocsparse_complex_numIdEEEv20rocsparse_direction_iPKiS5_PT2_S5_iPiS5_S8_21rocsparse_index_base_imNS_24const_host_device_scalarIfEENSA_IdEENSA_IS6_EEb.kd
    .uniform_work_group_size: 1
    .uses_dynamic_stack: false
    .vgpr_count:     44
    .vgpr_spill_count: 0
    .wavefront_size: 32
  - .args:
      - .offset:         0
        .size:           4
        .value_kind:     by_value
      - .offset:         4
        .size:           4
        .value_kind:     by_value
      - .address_space:  global
        .offset:         8
        .size:           8
        .value_kind:     global_buffer
      - .address_space:  global
        .offset:         16
        .size:           8
        .value_kind:     global_buffer
      - .address_space:  global
        .offset:         24
        .size:           8
        .value_kind:     global_buffer
      - .address_space:  global
        .offset:         32
        .size:           8
        .value_kind:     global_buffer
      - .offset:         40
        .size:           4
        .value_kind:     by_value
      - .address_space:  global
        .offset:         48
        .size:           8
        .value_kind:     global_buffer
      - .address_space:  global
        .offset:         56
        .size:           8
        .value_kind:     global_buffer
      - .address_space:  global
        .offset:         64
        .size:           8
        .value_kind:     global_buffer
      - .offset:         72
        .size:           4
        .value_kind:     by_value
      - .offset:         76
        .size:           4
        .value_kind:     by_value
      - .offset:         80
        .size:           8
        .value_kind:     by_value
      - .offset:         88
        .size:           8
        .value_kind:     by_value
      - .offset:         96
        .size:           8
        .value_kind:     by_value
      - .offset:         104
        .size:           16
        .value_kind:     by_value
      - .offset:         120
        .size:           1
        .value_kind:     by_value
    .group_segment_fixed_size: 33792
    .kernarg_segment_align: 8
    .kernarg_segment_size: 124
    .language:       OpenCL C
    .language_version:
      - 2
      - 0
    .max_flat_workgroup_size: 64
    .name:           _ZN9rocsparseL12bsrilu0_9_32ILj64ELj64ELj32E21rocsparse_complex_numIdEEEv20rocsparse_direction_iPKiS5_PT2_S5_iPiS5_S8_21rocsparse_index_base_imNS_24const_host_device_scalarIfEENSA_IdEENSA_IS6_EEb
    .private_segment_fixed_size: 48
    .sgpr_count:     48
    .sgpr_spill_count: 0
    .symbol:         _ZN9rocsparseL12bsrilu0_9_32ILj64ELj64ELj32E21rocsparse_complex_numIdEEEv20rocsparse_direction_iPKiS5_PT2_S5_iPiS5_S8_21rocsparse_index_base_imNS_24const_host_device_scalarIfEENSA_IdEENSA_IS6_EEb.kd
    .uniform_work_group_size: 1
    .uses_dynamic_stack: false
    .vgpr_count:     44
    .vgpr_spill_count: 0
    .wavefront_size: 32
  - .args:
      - .offset:         0
        .size:           4
        .value_kind:     by_value
      - .offset:         4
        .size:           4
        .value_kind:     by_value
      - .address_space:  global
        .offset:         8
        .size:           8
        .value_kind:     global_buffer
      - .address_space:  global
        .offset:         16
        .size:           8
        .value_kind:     global_buffer
      - .address_space:  global
        .offset:         24
        .size:           8
        .value_kind:     global_buffer
      - .address_space:  global
        .offset:         32
        .size:           8
        .value_kind:     global_buffer
      - .offset:         40
        .size:           4
        .value_kind:     by_value
      - .address_space:  global
        .offset:         48
        .size:           8
        .value_kind:     global_buffer
      - .address_space:  global
        .offset:         56
        .size:           8
        .value_kind:     global_buffer
      - .address_space:  global
        .offset:         64
        .size:           8
        .value_kind:     global_buffer
      - .offset:         72
        .size:           4
        .value_kind:     by_value
      - .offset:         76
        .size:           4
        .value_kind:     by_value
      - .offset:         80
        .size:           8
        .value_kind:     by_value
      - .offset:         88
        .size:           8
        .value_kind:     by_value
      - .offset:         96
        .size:           8
        .value_kind:     by_value
      - .offset:         104
        .size:           16
        .value_kind:     by_value
      - .offset:         120
        .size:           1
        .value_kind:     by_value
    .group_segment_fixed_size: 0
    .kernarg_segment_align: 8
    .kernarg_segment_size: 124
    .language:       OpenCL C
    .language_version:
      - 2
      - 0
    .max_flat_workgroup_size: 128
    .name:           _ZN9rocsparseL15bsrilu0_generalILj128ELj64ELb0E21rocsparse_complex_numIdEEEv20rocsparse_direction_iPKiS5_PT2_S5_iPiS5_S8_21rocsparse_index_base_imNS_24const_host_device_scalarIfEENSA_IdEENSA_IS6_EEb
    .private_segment_fixed_size: 48
    .sgpr_count:     46
    .sgpr_spill_count: 0
    .symbol:         _ZN9rocsparseL15bsrilu0_generalILj128ELj64ELb0E21rocsparse_complex_numIdEEEv20rocsparse_direction_iPKiS5_PT2_S5_iPiS5_S8_21rocsparse_index_base_imNS_24const_host_device_scalarIfEENSA_IdEENSA_IS6_EEb.kd
    .uniform_work_group_size: 1
    .uses_dynamic_stack: false
    .vgpr_count:     48
    .vgpr_spill_count: 0
    .wavefront_size: 32
amdhsa.target:   amdgcn-amd-amdhsa--gfx1250
amdhsa.version:
  - 1
  - 2
...

	.end_amdgpu_metadata
